;; amdgpu-corpus repo=ROCm/rocFFT kind=compiled arch=gfx1201 opt=O3
	.text
	.amdgcn_target "amdgcn-amd-amdhsa--gfx1201"
	.amdhsa_code_object_version 6
	.protected	fft_rtc_fwd_len546_factors_13_3_7_2_wgs_117_tpt_39_halfLds_sp_op_CI_CI_unitstride_sbrr_C2R_dirReg ; -- Begin function fft_rtc_fwd_len546_factors_13_3_7_2_wgs_117_tpt_39_halfLds_sp_op_CI_CI_unitstride_sbrr_C2R_dirReg
	.globl	fft_rtc_fwd_len546_factors_13_3_7_2_wgs_117_tpt_39_halfLds_sp_op_CI_CI_unitstride_sbrr_C2R_dirReg
	.p2align	8
	.type	fft_rtc_fwd_len546_factors_13_3_7_2_wgs_117_tpt_39_halfLds_sp_op_CI_CI_unitstride_sbrr_C2R_dirReg,@function
fft_rtc_fwd_len546_factors_13_3_7_2_wgs_117_tpt_39_halfLds_sp_op_CI_CI_unitstride_sbrr_C2R_dirReg: ; @fft_rtc_fwd_len546_factors_13_3_7_2_wgs_117_tpt_39_halfLds_sp_op_CI_CI_unitstride_sbrr_C2R_dirReg
; %bb.0:
	s_load_b128 s[8:11], s[0:1], 0x0
	v_mul_u32_u24_e32 v1, 0x691, v0
	s_clause 0x1
	s_load_b128 s[4:7], s[0:1], 0x58
	s_load_b128 s[12:15], s[0:1], 0x18
	v_mov_b32_e32 v5, 0
	v_lshrrev_b32_e32 v3, 16, v1
	v_mov_b32_e32 v1, 0
	v_mov_b32_e32 v2, 0
	s_delay_alu instid0(VALU_DEP_3) | instskip(NEXT) | instid1(VALU_DEP_2)
	v_mad_co_u64_u32 v[3:4], null, ttmp9, 3, v[3:4]
	v_dual_mov_b32 v4, v5 :: v_dual_mov_b32 v49, v2
	s_delay_alu instid0(VALU_DEP_1) | instskip(NEXT) | instid1(VALU_DEP_3)
	v_dual_mov_b32 v48, v1 :: v_dual_mov_b32 v53, v4
	v_mov_b32_e32 v52, v3
	s_wait_kmcnt 0x0
	v_cmp_lt_u64_e64 s2, s[10:11], 2
	s_delay_alu instid0(VALU_DEP_1)
	s_and_b32 vcc_lo, exec_lo, s2
	s_cbranch_vccnz .LBB0_8
; %bb.1:
	s_load_b64 s[2:3], s[0:1], 0x10
	v_dual_mov_b32 v1, 0 :: v_dual_mov_b32 v8, v4
	v_dual_mov_b32 v2, 0 :: v_dual_mov_b32 v7, v3
	s_add_nc_u64 s[16:17], s[14:15], 8
	s_add_nc_u64 s[18:19], s[12:13], 8
	s_mov_b64 s[20:21], 1
	s_delay_alu instid0(VALU_DEP_1)
	v_dual_mov_b32 v49, v2 :: v_dual_mov_b32 v48, v1
	s_wait_kmcnt 0x0
	s_add_nc_u64 s[22:23], s[2:3], 8
	s_mov_b32 s3, 0
.LBB0_2:                                ; =>This Inner Loop Header: Depth=1
	s_load_b64 s[24:25], s[22:23], 0x0
                                        ; implicit-def: $vgpr52_vgpr53
	s_mov_b32 s2, exec_lo
	s_wait_kmcnt 0x0
	v_or_b32_e32 v6, s25, v8
	s_delay_alu instid0(VALU_DEP_1)
	v_cmpx_ne_u64_e32 0, v[5:6]
	s_wait_alu 0xfffe
	s_xor_b32 s26, exec_lo, s2
	s_cbranch_execz .LBB0_4
; %bb.3:                                ;   in Loop: Header=BB0_2 Depth=1
	s_cvt_f32_u32 s2, s24
	s_cvt_f32_u32 s27, s25
	s_sub_nc_u64 s[30:31], 0, s[24:25]
	s_wait_alu 0xfffe
	s_delay_alu instid0(SALU_CYCLE_1) | instskip(SKIP_1) | instid1(SALU_CYCLE_2)
	s_fmamk_f32 s2, s27, 0x4f800000, s2
	s_wait_alu 0xfffe
	v_s_rcp_f32 s2, s2
	s_delay_alu instid0(TRANS32_DEP_1) | instskip(SKIP_1) | instid1(SALU_CYCLE_2)
	s_mul_f32 s2, s2, 0x5f7ffffc
	s_wait_alu 0xfffe
	s_mul_f32 s27, s2, 0x2f800000
	s_wait_alu 0xfffe
	s_delay_alu instid0(SALU_CYCLE_2) | instskip(SKIP_1) | instid1(SALU_CYCLE_2)
	s_trunc_f32 s27, s27
	s_wait_alu 0xfffe
	s_fmamk_f32 s2, s27, 0xcf800000, s2
	s_cvt_u32_f32 s29, s27
	s_wait_alu 0xfffe
	s_delay_alu instid0(SALU_CYCLE_1) | instskip(SKIP_1) | instid1(SALU_CYCLE_2)
	s_cvt_u32_f32 s28, s2
	s_wait_alu 0xfffe
	s_mul_u64 s[34:35], s[30:31], s[28:29]
	s_wait_alu 0xfffe
	s_mul_hi_u32 s37, s28, s35
	s_mul_i32 s36, s28, s35
	s_mul_hi_u32 s2, s28, s34
	s_mul_i32 s33, s29, s34
	s_wait_alu 0xfffe
	s_add_nc_u64 s[36:37], s[2:3], s[36:37]
	s_mul_hi_u32 s27, s29, s34
	s_mul_hi_u32 s38, s29, s35
	s_add_co_u32 s2, s36, s33
	s_wait_alu 0xfffe
	s_add_co_ci_u32 s2, s37, s27
	s_mul_i32 s34, s29, s35
	s_add_co_ci_u32 s35, s38, 0
	s_wait_alu 0xfffe
	s_add_nc_u64 s[34:35], s[2:3], s[34:35]
	s_wait_alu 0xfffe
	v_add_co_u32 v4, s2, s28, s34
	s_delay_alu instid0(VALU_DEP_1) | instskip(SKIP_1) | instid1(VALU_DEP_1)
	s_cmp_lg_u32 s2, 0
	s_add_co_ci_u32 s29, s29, s35
	v_readfirstlane_b32 s28, v4
	s_wait_alu 0xfffe
	s_delay_alu instid0(VALU_DEP_1)
	s_mul_u64 s[30:31], s[30:31], s[28:29]
	s_wait_alu 0xfffe
	s_mul_hi_u32 s35, s28, s31
	s_mul_i32 s34, s28, s31
	s_mul_hi_u32 s2, s28, s30
	s_mul_i32 s33, s29, s30
	s_wait_alu 0xfffe
	s_add_nc_u64 s[34:35], s[2:3], s[34:35]
	s_mul_hi_u32 s27, s29, s30
	s_mul_hi_u32 s28, s29, s31
	s_wait_alu 0xfffe
	s_add_co_u32 s2, s34, s33
	s_add_co_ci_u32 s2, s35, s27
	s_mul_i32 s30, s29, s31
	s_add_co_ci_u32 s31, s28, 0
	s_wait_alu 0xfffe
	s_add_nc_u64 s[30:31], s[2:3], s[30:31]
	s_wait_alu 0xfffe
	v_add_co_u32 v4, s2, v4, s30
	s_delay_alu instid0(VALU_DEP_1) | instskip(SKIP_1) | instid1(VALU_DEP_1)
	s_cmp_lg_u32 s2, 0
	s_add_co_ci_u32 s2, s29, s31
	v_mul_hi_u32 v6, v7, v4
	s_wait_alu 0xfffe
	v_mad_co_u64_u32 v[9:10], null, v7, s2, 0
	v_mad_co_u64_u32 v[11:12], null, v8, v4, 0
	;; [unrolled: 1-line block ×3, first 2 shown]
	s_delay_alu instid0(VALU_DEP_3) | instskip(SKIP_1) | instid1(VALU_DEP_4)
	v_add_co_u32 v4, vcc_lo, v6, v9
	s_wait_alu 0xfffd
	v_add_co_ci_u32_e32 v6, vcc_lo, 0, v10, vcc_lo
	s_delay_alu instid0(VALU_DEP_2) | instskip(SKIP_1) | instid1(VALU_DEP_2)
	v_add_co_u32 v4, vcc_lo, v4, v11
	s_wait_alu 0xfffd
	v_add_co_ci_u32_e32 v4, vcc_lo, v6, v12, vcc_lo
	s_wait_alu 0xfffd
	v_add_co_ci_u32_e32 v6, vcc_lo, 0, v14, vcc_lo
	s_delay_alu instid0(VALU_DEP_2) | instskip(SKIP_1) | instid1(VALU_DEP_2)
	v_add_co_u32 v4, vcc_lo, v4, v13
	s_wait_alu 0xfffd
	v_add_co_ci_u32_e32 v6, vcc_lo, 0, v6, vcc_lo
	s_delay_alu instid0(VALU_DEP_2) | instskip(SKIP_1) | instid1(VALU_DEP_3)
	v_mul_lo_u32 v11, s25, v4
	v_mad_co_u64_u32 v[9:10], null, s24, v4, 0
	v_mul_lo_u32 v12, s24, v6
	s_delay_alu instid0(VALU_DEP_2) | instskip(NEXT) | instid1(VALU_DEP_2)
	v_sub_co_u32 v9, vcc_lo, v7, v9
	v_add3_u32 v10, v10, v12, v11
	s_delay_alu instid0(VALU_DEP_1) | instskip(SKIP_1) | instid1(VALU_DEP_1)
	v_sub_nc_u32_e32 v11, v8, v10
	s_wait_alu 0xfffd
	v_subrev_co_ci_u32_e64 v11, s2, s25, v11, vcc_lo
	v_add_co_u32 v12, s2, v4, 2
	s_wait_alu 0xf1ff
	v_add_co_ci_u32_e64 v13, s2, 0, v6, s2
	v_sub_co_u32 v14, s2, v9, s24
	v_sub_co_ci_u32_e32 v10, vcc_lo, v8, v10, vcc_lo
	s_wait_alu 0xf1ff
	v_subrev_co_ci_u32_e64 v11, s2, 0, v11, s2
	s_delay_alu instid0(VALU_DEP_3) | instskip(NEXT) | instid1(VALU_DEP_3)
	v_cmp_le_u32_e32 vcc_lo, s24, v14
	v_cmp_eq_u32_e64 s2, s25, v10
	s_wait_alu 0xfffd
	v_cndmask_b32_e64 v14, 0, -1, vcc_lo
	v_cmp_le_u32_e32 vcc_lo, s25, v11
	s_wait_alu 0xfffd
	v_cndmask_b32_e64 v15, 0, -1, vcc_lo
	v_cmp_le_u32_e32 vcc_lo, s24, v9
	;; [unrolled: 3-line block ×3, first 2 shown]
	s_wait_alu 0xfffd
	v_cndmask_b32_e64 v16, 0, -1, vcc_lo
	v_cmp_eq_u32_e32 vcc_lo, s25, v11
	s_wait_alu 0xf1ff
	s_delay_alu instid0(VALU_DEP_2)
	v_cndmask_b32_e64 v9, v16, v9, s2
	s_wait_alu 0xfffd
	v_cndmask_b32_e32 v11, v15, v14, vcc_lo
	v_add_co_u32 v14, vcc_lo, v4, 1
	s_wait_alu 0xfffd
	v_add_co_ci_u32_e32 v15, vcc_lo, 0, v6, vcc_lo
	s_delay_alu instid0(VALU_DEP_3) | instskip(SKIP_1) | instid1(VALU_DEP_2)
	v_cmp_ne_u32_e32 vcc_lo, 0, v11
	s_wait_alu 0xfffd
	v_dual_cndmask_b32 v10, v15, v13 :: v_dual_cndmask_b32 v11, v14, v12
	v_cmp_ne_u32_e32 vcc_lo, 0, v9
	s_wait_alu 0xfffd
	s_delay_alu instid0(VALU_DEP_2)
	v_dual_cndmask_b32 v53, v6, v10 :: v_dual_cndmask_b32 v52, v4, v11
.LBB0_4:                                ;   in Loop: Header=BB0_2 Depth=1
	s_wait_alu 0xfffe
	s_and_not1_saveexec_b32 s2, s26
	s_cbranch_execz .LBB0_6
; %bb.5:                                ;   in Loop: Header=BB0_2 Depth=1
	v_cvt_f32_u32_e32 v4, s24
	s_sub_co_i32 s26, 0, s24
	v_mov_b32_e32 v53, v5
	s_delay_alu instid0(VALU_DEP_2) | instskip(NEXT) | instid1(TRANS32_DEP_1)
	v_rcp_iflag_f32_e32 v4, v4
	v_mul_f32_e32 v4, 0x4f7ffffe, v4
	s_delay_alu instid0(VALU_DEP_1) | instskip(SKIP_1) | instid1(VALU_DEP_1)
	v_cvt_u32_f32_e32 v4, v4
	s_wait_alu 0xfffe
	v_mul_lo_u32 v6, s26, v4
	s_delay_alu instid0(VALU_DEP_1) | instskip(NEXT) | instid1(VALU_DEP_1)
	v_mul_hi_u32 v6, v4, v6
	v_add_nc_u32_e32 v4, v4, v6
	s_delay_alu instid0(VALU_DEP_1) | instskip(NEXT) | instid1(VALU_DEP_1)
	v_mul_hi_u32 v4, v7, v4
	v_mul_lo_u32 v6, v4, s24
	s_delay_alu instid0(VALU_DEP_1) | instskip(NEXT) | instid1(VALU_DEP_1)
	v_sub_nc_u32_e32 v6, v7, v6
	v_subrev_nc_u32_e32 v10, s24, v6
	v_cmp_le_u32_e32 vcc_lo, s24, v6
	s_wait_alu 0xfffd
	s_delay_alu instid0(VALU_DEP_2) | instskip(NEXT) | instid1(VALU_DEP_1)
	v_dual_cndmask_b32 v6, v6, v10 :: v_dual_add_nc_u32 v9, 1, v4
	v_cndmask_b32_e32 v4, v4, v9, vcc_lo
	s_delay_alu instid0(VALU_DEP_2) | instskip(NEXT) | instid1(VALU_DEP_2)
	v_cmp_le_u32_e32 vcc_lo, s24, v6
	v_add_nc_u32_e32 v9, 1, v4
	s_wait_alu 0xfffd
	s_delay_alu instid0(VALU_DEP_1)
	v_cndmask_b32_e32 v52, v4, v9, vcc_lo
.LBB0_6:                                ;   in Loop: Header=BB0_2 Depth=1
	s_wait_alu 0xfffe
	s_or_b32 exec_lo, exec_lo, s2
	v_mul_lo_u32 v4, v53, s24
	s_delay_alu instid0(VALU_DEP_2)
	v_mul_lo_u32 v6, v52, s25
	s_load_b64 s[26:27], s[18:19], 0x0
	v_mad_co_u64_u32 v[9:10], null, v52, s24, 0
	s_load_b64 s[24:25], s[16:17], 0x0
	s_add_nc_u64 s[20:21], s[20:21], 1
	s_add_nc_u64 s[16:17], s[16:17], 8
	s_wait_alu 0xfffe
	v_cmp_ge_u64_e64 s2, s[20:21], s[10:11]
	s_add_nc_u64 s[18:19], s[18:19], 8
	s_add_nc_u64 s[22:23], s[22:23], 8
	v_add3_u32 v4, v10, v6, v4
	v_sub_co_u32 v6, vcc_lo, v7, v9
	s_wait_alu 0xfffd
	s_delay_alu instid0(VALU_DEP_2) | instskip(SKIP_2) | instid1(VALU_DEP_1)
	v_sub_co_ci_u32_e32 v4, vcc_lo, v8, v4, vcc_lo
	s_and_b32 vcc_lo, exec_lo, s2
	s_wait_kmcnt 0x0
	v_mul_lo_u32 v7, s26, v4
	v_mul_lo_u32 v8, s27, v6
	v_mad_co_u64_u32 v[1:2], null, s26, v6, v[1:2]
	v_mul_lo_u32 v4, s24, v4
	v_mul_lo_u32 v9, s25, v6
	v_mad_co_u64_u32 v[48:49], null, s24, v6, v[48:49]
	s_delay_alu instid0(VALU_DEP_4) | instskip(NEXT) | instid1(VALU_DEP_2)
	v_add3_u32 v2, v8, v2, v7
	v_add3_u32 v49, v9, v49, v4
	s_wait_alu 0xfffe
	s_cbranch_vccnz .LBB0_8
; %bb.7:                                ;   in Loop: Header=BB0_2 Depth=1
	v_dual_mov_b32 v7, v52 :: v_dual_mov_b32 v8, v53
	s_branch .LBB0_2
.LBB0_8:
	s_load_b64 s[0:1], s[0:1], 0x28
	v_mul_hi_u32 v4, 0xaaaaaaab, v3
	v_mul_hi_u32 v5, 0x6906907, v0
	s_lshl_b64 s[10:11], s[10:11], 3
                                        ; implicit-def: $vgpr50
	s_wait_alu 0xfffe
	s_add_nc_u64 s[2:3], s[14:15], s[10:11]
	s_delay_alu instid0(VALU_DEP_2) | instskip(NEXT) | instid1(VALU_DEP_1)
	v_lshrrev_b32_e32 v4, 1, v4
	v_lshl_add_u32 v4, v4, 1, v4
	s_delay_alu instid0(VALU_DEP_1) | instskip(SKIP_3) | instid1(VALU_DEP_1)
	v_sub_nc_u32_e32 v6, v3, v4
	s_wait_kmcnt 0x0
	v_cmp_gt_u64_e32 vcc_lo, s[0:1], v[52:53]
	v_cmp_le_u64_e64 s0, s[0:1], v[52:53]
                                        ; implicit-def: $vgpr3_vgpr4
	s_and_saveexec_b32 s1, s0
	s_wait_alu 0xfffe
	s_xor_b32 s0, exec_lo, s1
; %bb.9:
	v_mul_u32_u24_e32 v1, 39, v5
	v_mov_b32_e32 v51, 0
                                        ; implicit-def: $vgpr5
	s_delay_alu instid0(VALU_DEP_2) | instskip(NEXT) | instid1(VALU_DEP_1)
	v_sub_nc_u32_e32 v50, v0, v1
                                        ; implicit-def: $vgpr0
                                        ; implicit-def: $vgpr1_vgpr2
	v_dual_mov_b32 v3, v50 :: v_dual_mov_b32 v4, v51
; %bb.10:
	s_wait_alu 0xfffe
	s_or_saveexec_b32 s1, s0
	s_load_b64 s[2:3], s[2:3], 0x0
	v_mul_u32_u24_e32 v63, 0x223, v6
	s_delay_alu instid0(VALU_DEP_1)
	v_lshlrev_b32_e32 v66, 3, v63
	s_xor_b32 exec_lo, exec_lo, s1
	s_cbranch_execz .LBB0_14
; %bb.11:
	s_add_nc_u64 s[10:11], s[12:13], s[10:11]
	v_mul_u32_u24_e32 v5, 39, v5
	s_load_b64 s[10:11], s[10:11], 0x0
	v_lshlrev_b64_e32 v[1:2], 3, v[1:2]
	v_mov_b32_e32 v51, 0
	s_delay_alu instid0(VALU_DEP_3) | instskip(SKIP_4) | instid1(VALU_DEP_1)
	v_sub_nc_u32_e32 v50, v0, v5
	s_wait_kmcnt 0x0
	v_mul_lo_u32 v6, s11, v52
	v_mul_lo_u32 v7, s10, v53
	v_mad_co_u64_u32 v[3:4], null, s10, v52, 0
	v_add3_u32 v4, v4, v7, v6
	s_delay_alu instid0(VALU_DEP_1) | instskip(NEXT) | instid1(VALU_DEP_1)
	v_lshlrev_b64_e32 v[3:4], 3, v[3:4]
	v_add_co_u32 v0, s0, s4, v3
	s_wait_alu 0xf1ff
	s_delay_alu instid0(VALU_DEP_2) | instskip(SKIP_1) | instid1(VALU_DEP_3)
	v_add_co_ci_u32_e64 v3, s0, s5, v4, s0
	v_lshlrev_b32_e32 v4, 3, v50
	v_add_co_u32 v0, s0, v0, v1
	s_wait_alu 0xf1ff
	s_delay_alu instid0(VALU_DEP_3) | instskip(SKIP_1) | instid1(VALU_DEP_2)
	v_add_co_ci_u32_e64 v1, s0, v3, v2, s0
	s_mov_b32 s4, exec_lo
	v_add_co_u32 v2, s0, v0, v4
	s_wait_alu 0xf1ff
	s_delay_alu instid0(VALU_DEP_2)
	v_add_co_ci_u32_e64 v3, s0, 0, v1, s0
	s_clause 0xd
	global_load_b64 v[5:6], v[2:3], off
	global_load_b64 v[7:8], v[2:3], off offset:312
	global_load_b64 v[9:10], v[2:3], off offset:624
	;; [unrolled: 1-line block ×13, first 2 shown]
	v_add3_u32 v2, 0, v66, v4
	v_dual_mov_b32 v3, v50 :: v_dual_mov_b32 v4, v51
	s_delay_alu instid0(VALU_DEP_2)
	v_add_nc_u32_e32 v33, 0x400, v2
	v_add_nc_u32_e32 v34, 0x800, v2
	s_wait_loadcnt 0xc
	ds_store_2addr_b64 v2, v[5:6], v[7:8] offset1:39
	s_wait_loadcnt 0xa
	ds_store_2addr_b64 v2, v[9:10], v[11:12] offset0:78 offset1:117
	s_wait_loadcnt 0x8
	ds_store_2addr_b64 v2, v[13:14], v[15:16] offset0:156 offset1:195
	;; [unrolled: 2-line block ×6, first 2 shown]
	v_cmpx_eq_u32_e32 38, v50
	s_cbranch_execz .LBB0_13
; %bb.12:
	global_load_b64 v[0:1], v[0:1], off offset:4368
	v_dual_mov_b32 v3, 38 :: v_dual_mov_b32 v50, 38
	v_mov_b32_e32 v4, 0
	s_wait_loadcnt 0x0
	ds_store_b64 v2, v[0:1] offset:4064
.LBB0_13:
	s_wait_alu 0xfffe
	s_or_b32 exec_lo, exec_lo, s4
.LBB0_14:
	s_delay_alu instid0(SALU_CYCLE_1)
	s_or_b32 exec_lo, exec_lo, s1
	v_lshl_add_u32 v62, v63, 3, 0
	v_lshlrev_b32_e32 v0, 3, v50
	global_wb scope:SCOPE_SE
	s_wait_dscnt 0x0
	s_wait_kmcnt 0x0
	s_barrier_signal -1
	s_barrier_wait -1
	global_inv scope:SCOPE_SE
	v_add_nc_u32_e32 v64, v62, v0
	v_sub_nc_u32_e32 v2, v62, v0
	v_lshlrev_b64_e32 v[54:55], 3, v[3:4]
	s_mov_b32 s1, exec_lo
	ds_load_b32 v1, v64
	ds_load_b32 v5, v2 offset:4368
	s_wait_dscnt 0x0
	v_add_f32_e32 v0, v5, v1
	v_sub_f32_e32 v1, v1, v5
	v_cmpx_ne_u32_e32 0, v50
	s_wait_alu 0xfffe
	s_xor_b32 s1, exec_lo, s1
	s_cbranch_execz .LBB0_16
; %bb.15:
	v_add_co_u32 v3, s0, s8, v54
	s_wait_alu 0xf1ff
	v_add_co_ci_u32_e64 v4, s0, s9, v55, s0
	global_load_b64 v[3:4], v[3:4], off offset:4264
	ds_load_b32 v5, v2 offset:4372
	ds_load_b32 v6, v64 offset:4
	s_wait_dscnt 0x0
	v_dual_add_f32 v8, v5, v6 :: v_dual_sub_f32 v7, v6, v5
	s_wait_loadcnt 0x0
	v_fma_f32 v9, v1, v4, v0
	s_delay_alu instid0(VALU_DEP_2) | instskip(SKIP_2) | instid1(VALU_DEP_4)
	v_fma_f32 v5, v8, v4, v7
	v_fma_f32 v6, -v1, v4, v0
	v_fma_f32 v7, v8, v4, -v7
                                        ; implicit-def: $vgpr0
	v_fma_f32 v4, -v3, v8, v9
	s_delay_alu instid0(VALU_DEP_3) | instskip(NEXT) | instid1(VALU_DEP_3)
	v_dual_fmac_f32 v5, v1, v3 :: v_dual_fmac_f32 v6, v3, v8
	v_fmac_f32_e32 v7, v1, v3
	ds_store_b64 v64, v[4:5]
	ds_store_b64 v2, v[6:7] offset:4368
.LBB0_16:
	s_wait_alu 0xfffe
	s_and_not1_saveexec_b32 s0, s1
	s_cbranch_execz .LBB0_18
; %bb.17:
	ds_store_b64 v64, v[0:1]
	ds_load_b64 v[0:1], v62 offset:2184
	s_wait_dscnt 0x0
	v_dual_add_f32 v0, v0, v0 :: v_dual_mul_f32 v1, -2.0, v1
	ds_store_b64 v62, v[0:1] offset:2184
.LBB0_18:
	s_wait_alu 0xfffe
	s_or_b32 exec_lo, exec_lo, s0
	v_mov_b32_e32 v51, 0
	s_add_nc_u64 s[0:1], s[8:9], 0x10a8
	v_lshl_add_u32 v65, v50, 3, 0
	s_delay_alu instid0(VALU_DEP_2) | instskip(NEXT) | instid1(VALU_DEP_2)
	v_lshlrev_b64_e32 v[56:57], 3, v[50:51]
	v_add_nc_u32_e32 v51, v65, v66
	s_wait_alu 0xfffe
	s_delay_alu instid0(VALU_DEP_2) | instskip(SKIP_1) | instid1(VALU_DEP_3)
	v_add_co_u32 v0, s0, s0, v56
	s_wait_alu 0xf1ff
	v_add_co_ci_u32_e64 v1, s0, s1, v57, s0
	v_add_nc_u32_e32 v67, 0x800, v51
	s_mov_b32 s1, exec_lo
	s_clause 0x5
	global_load_b64 v[3:4], v[0:1], off offset:312
	global_load_b64 v[5:6], v[0:1], off offset:624
	;; [unrolled: 1-line block ×6, first 2 shown]
	ds_load_b64 v[13:14], v64 offset:312
	ds_load_b64 v[15:16], v2 offset:4056
	s_wait_dscnt 0x0
	v_dual_add_f32 v17, v13, v15 :: v_dual_add_f32 v18, v16, v14
	v_sub_f32_e32 v19, v13, v15
	v_sub_f32_e32 v13, v14, v16
	s_wait_loadcnt 0x5
	s_delay_alu instid0(VALU_DEP_1) | instskip(NEXT) | instid1(VALU_DEP_3)
	v_fma_f32 v14, v18, v4, v13
	v_fma_f32 v20, v19, v4, v17
	v_fma_f32 v15, -v19, v4, v17
	s_delay_alu instid0(VALU_DEP_3) | instskip(SKIP_1) | instid1(VALU_DEP_4)
	v_fmac_f32_e32 v14, v19, v3
	v_fma_f32 v16, v18, v4, -v13
	v_fma_f32 v13, -v3, v18, v20
	s_delay_alu instid0(VALU_DEP_4) | instskip(NEXT) | instid1(VALU_DEP_3)
	v_fmac_f32_e32 v15, v3, v18
	v_fmac_f32_e32 v16, v19, v3
	ds_store_b64 v64, v[13:14] offset:312
	ds_store_b64 v2, v[15:16] offset:4056
	ds_load_b64 v[3:4], v64 offset:624
	ds_load_b64 v[13:14], v2 offset:3744
	s_wait_dscnt 0x0
	v_dual_add_f32 v15, v3, v13 :: v_dual_add_f32 v16, v14, v4
	v_sub_f32_e32 v17, v3, v13
	v_sub_f32_e32 v3, v4, v14
	s_wait_loadcnt 0x4
	s_delay_alu instid0(VALU_DEP_2) | instskip(NEXT) | instid1(VALU_DEP_2)
	v_fma_f32 v18, v17, v6, v15
	v_fma_f32 v4, v16, v6, v3
	v_fma_f32 v13, -v17, v6, v15
	v_fma_f32 v14, v16, v6, -v3
	s_delay_alu instid0(VALU_DEP_4) | instskip(NEXT) | instid1(VALU_DEP_4)
	v_fma_f32 v3, -v5, v16, v18
	v_fmac_f32_e32 v4, v17, v5
	s_delay_alu instid0(VALU_DEP_4) | instskip(NEXT) | instid1(VALU_DEP_4)
	v_fmac_f32_e32 v13, v5, v16
	v_fmac_f32_e32 v14, v17, v5
	ds_store_b64 v64, v[3:4] offset:624
	ds_store_b64 v2, v[13:14] offset:3744
	ds_load_b64 v[3:4], v64 offset:936
	ds_load_b64 v[5:6], v2 offset:3432
	s_wait_dscnt 0x0
	v_dual_add_f32 v13, v3, v5 :: v_dual_add_f32 v14, v6, v4
	v_sub_f32_e32 v15, v3, v5
	v_sub_f32_e32 v3, v4, v6
	s_wait_loadcnt 0x3
	s_delay_alu instid0(VALU_DEP_2) | instskip(NEXT) | instid1(VALU_DEP_2)
	v_fma_f32 v16, v15, v8, v13
	v_fma_f32 v4, v14, v8, v3
	v_fma_f32 v5, -v15, v8, v13
	v_fma_f32 v6, v14, v8, -v3
	s_delay_alu instid0(VALU_DEP_4) | instskip(NEXT) | instid1(VALU_DEP_4)
	v_fma_f32 v3, -v7, v14, v16
	v_fmac_f32_e32 v4, v15, v7
	s_delay_alu instid0(VALU_DEP_4) | instskip(NEXT) | instid1(VALU_DEP_4)
	v_fmac_f32_e32 v5, v7, v14
	v_fmac_f32_e32 v6, v15, v7
	ds_store_b64 v64, v[3:4] offset:936
	ds_store_b64 v2, v[5:6] offset:3432
	ds_load_b64 v[3:4], v64 offset:1248
	ds_load_b64 v[5:6], v2 offset:3120
	s_wait_dscnt 0x0
	v_dual_add_f32 v7, v3, v5 :: v_dual_add_f32 v8, v6, v4
	v_sub_f32_e32 v13, v3, v5
	v_sub_f32_e32 v3, v4, v6
	s_wait_loadcnt 0x2
	s_delay_alu instid0(VALU_DEP_2) | instskip(NEXT) | instid1(VALU_DEP_2)
	v_fma_f32 v14, v13, v10, v7
	v_fma_f32 v6, v8, v10, -v3
	v_fma_f32 v5, -v13, v10, v7
	s_delay_alu instid0(VALU_DEP_2) | instskip(SKIP_2) | instid1(VALU_DEP_4)
	v_fmac_f32_e32 v6, v13, v9
	v_fma_f32 v4, v8, v10, v3
	v_fma_f32 v3, -v9, v8, v14
	v_fmac_f32_e32 v5, v9, v8
	s_delay_alu instid0(VALU_DEP_3)
	v_fmac_f32_e32 v4, v13, v9
	ds_store_b64 v64, v[3:4] offset:1248
	ds_store_b64 v2, v[5:6] offset:3120
	ds_load_b64 v[3:4], v64 offset:1560
	ds_load_b64 v[5:6], v2 offset:2808
	s_wait_dscnt 0x0
	v_dual_add_f32 v7, v3, v5 :: v_dual_add_f32 v8, v6, v4
	v_sub_f32_e32 v9, v3, v5
	v_sub_f32_e32 v3, v4, v6
	s_wait_loadcnt 0x1
	s_delay_alu instid0(VALU_DEP_2) | instskip(NEXT) | instid1(VALU_DEP_2)
	v_fma_f32 v10, v9, v12, v7
	v_fma_f32 v4, v8, v12, v3
	v_fma_f32 v5, -v9, v12, v7
	v_fma_f32 v6, v8, v12, -v3
	s_delay_alu instid0(VALU_DEP_4) | instskip(NEXT) | instid1(VALU_DEP_3)
	v_fma_f32 v3, -v11, v8, v10
	v_dual_fmac_f32 v4, v9, v11 :: v_dual_fmac_f32 v5, v11, v8
	s_delay_alu instid0(VALU_DEP_3)
	v_fmac_f32_e32 v6, v9, v11
	ds_store_b64 v64, v[3:4] offset:1560
	ds_store_b64 v2, v[5:6] offset:2808
	ds_load_b64 v[3:4], v64 offset:1872
	ds_load_b64 v[5:6], v2 offset:2496
	s_wait_dscnt 0x0
	v_dual_add_f32 v7, v3, v5 :: v_dual_add_f32 v8, v6, v4
	v_sub_f32_e32 v9, v3, v5
	v_sub_f32_e32 v3, v4, v6
	s_wait_loadcnt 0x0
	s_delay_alu instid0(VALU_DEP_2) | instskip(NEXT) | instid1(VALU_DEP_2)
	v_fma_f32 v10, v9, v1, v7
	v_fma_f32 v4, v8, v1, v3
	v_fma_f32 v5, -v9, v1, v7
	v_fma_f32 v6, v8, v1, -v3
	s_delay_alu instid0(VALU_DEP_4) | instskip(NEXT) | instid1(VALU_DEP_4)
	v_fma_f32 v3, -v0, v8, v10
	v_fmac_f32_e32 v4, v9, v0
	s_delay_alu instid0(VALU_DEP_4) | instskip(NEXT) | instid1(VALU_DEP_4)
	v_fmac_f32_e32 v5, v0, v8
	v_fmac_f32_e32 v6, v9, v0
	ds_store_b64 v64, v[3:4] offset:1872
	ds_store_b64 v2, v[5:6] offset:2496
	global_wb scope:SCOPE_SE
	s_wait_dscnt 0x0
	s_barrier_signal -1
	s_barrier_wait -1
	global_inv scope:SCOPE_SE
	global_wb scope:SCOPE_SE
	s_barrier_signal -1
	s_barrier_wait -1
	global_inv scope:SCOPE_SE
	ds_load_2addr_b64 v[0:3], v51 offset0:39 offset1:42
	ds_load_b64 v[60:61], v64
	ds_load_2addr_b64 v[4:7], v67 offset0:245 offset1:248
	ds_load_2addr_b64 v[44:47], v51 offset0:81 offset1:84
	;; [unrolled: 1-line block ×11, first 2 shown]
	ds_load_b64 v[58:59], v51 offset:4344
	global_wb scope:SCOPE_SE
	s_wait_dscnt 0x0
	s_barrier_signal -1
	s_barrier_wait -1
	global_inv scope:SCOPE_SE
	v_dual_add_f32 v106, v60, v2 :: v_dual_add_f32 v107, v61, v3
	v_sub_f32_e32 v108, v2, v6
	v_add_f32_e32 v86, v18, v46
	v_dual_sub_f32 v93, v46, v18 :: v_dual_add_f32 v110, v0, v44
	s_delay_alu instid0(VALU_DEP_4)
	v_add_f32_e32 v46, v106, v46
	v_add_f32_e32 v87, v6, v2
	v_sub_f32_e32 v109, v3, v7
	v_add_f32_e32 v2, v19, v47
	v_dual_sub_f32 v95, v47, v19 :: v_dual_sub_f32 v102, v30, v14
	v_dual_sub_f32 v79, v45, v59 :: v_dual_add_f32 v90, v22, v42
	v_dual_sub_f32 v89, v42, v22 :: v_dual_add_f32 v72, v5, v41
	v_sub_f32_e32 v98, v34, v10
	v_dual_add_f32 v104, v14, v30 :: v_dual_add_f32 v111, v1, v45
	v_add_f32_e32 v70, v24, v28
	v_dual_add_f32 v69, v4, v40 :: v_dual_add_f32 v112, v7, v3
	v_dual_sub_f32 v81, v40, v4 :: v_dual_mul_f32 v106, 0xbeedf032, v109
	v_dual_add_f32 v73, v17, v37 :: v_dual_add_f32 v40, v110, v40
	v_add_f32_e32 v47, v107, v47
	v_dual_mul_f32 v107, 0xbeedf032, v108 :: v_dual_add_f32 v42, v46, v42
	v_add_f32_e32 v88, v23, v43
	v_dual_sub_f32 v103, v43, v23 :: v_dual_add_f32 v68, v58, v44
	v_dual_add_f32 v94, v26, v38 :: v_dual_add_f32 v91, v27, v39
	v_sub_f32_e32 v80, v41, v5
	v_sub_f32_e32 v92, v38, v26
	v_add_f32_e32 v99, v10, v34
	v_dual_add_f32 v97, v11, v35 :: v_dual_sub_f32 v78, v36, v16
	v_dual_sub_f32 v83, v44, v58 :: v_dual_sub_f32 v84, v33, v21
	v_dual_add_f32 v44, v16, v36 :: v_dual_add_f32 v75, v25, v29
	v_dual_mul_f32 v116, 0xbf7e222b, v108 :: v_dual_sub_f32 v85, v29, v25
	v_dual_mul_f32 v118, 0xbf29c268, v108 :: v_dual_add_f32 v41, v111, v41
	v_mul_f32_e32 v122, 0xbf6f5d39, v95
	v_dual_mul_f32 v111, 0xbf7e222b, v109 :: v_dual_add_f32 v36, v40, v36
	v_dual_mul_f32 v113, 0xbf6f5d39, v109 :: v_dual_add_f32 v38, v42, v38
	v_dual_mul_f32 v115, 0xbf52af12, v108 :: v_dual_mul_f32 v120, 0xbf52af12, v93
	v_mul_f32_e32 v117, 0xbf6f5d39, v108
	v_mul_f32_e32 v108, 0xbe750f2a, v108
	s_delay_alu instid0(VALU_DEP_4)
	v_dual_add_f32 v34, v38, v34 :: v_dual_add_f32 v43, v47, v43
	v_fmamk_f32 v138, v112, 0x3df6dbef, v116
	v_sub_f32_e32 v96, v39, v27
	v_dual_sub_f32 v101, v35, v11 :: v_dual_sub_f32 v82, v37, v17
	v_dual_add_f32 v71, v59, v45 :: v_dual_sub_f32 v76, v28, v24
	v_dual_add_f32 v45, v20, v32 :: v_dual_mul_f32 v110, 0xbf52af12, v109
	v_dual_sub_f32 v77, v32, v20 :: v_dual_mul_f32 v114, 0xbf29c268, v109
	v_dual_mul_f32 v109, 0xbe750f2a, v109 :: v_dual_mul_f32 v124, 0xbe750f2a, v103
	v_dual_mul_f32 v119, 0xbf52af12, v95 :: v_dual_add_f32 v32, v36, v32
	v_dual_mul_f32 v128, 0x3f6f5d39, v103 :: v_dual_add_f32 v37, v41, v37
	v_dual_fmamk_f32 v140, v112, 0xbf3f9e67, v118 :: v_dual_add_f32 v39, v43, v39
	v_add_f32_e32 v100, v15, v31
	v_dual_sub_f32 v105, v31, v15 :: v_dual_add_f32 v74, v21, v33
	v_dual_mul_f32 v125, 0xbe750f2a, v89 :: v_dual_mul_f32 v126, 0xbe750f2a, v95
	v_dual_mul_f32 v129, 0x3f29c268, v95 :: v_dual_mul_f32 v130, 0x3f29c268, v93
	;; [unrolled: 1-line block ×3, first 2 shown]
	v_dual_mul_f32 v134, 0xbf52af12, v103 :: v_dual_add_f32 v33, v37, v33
	v_mul_f32_e32 v3, 0xbf7e222b, v103
	v_fma_f32 v40, 0x3f62ad3f, v87, -v106
	v_fmac_f32_e32 v106, 0x3f62ad3f, v87
	v_fma_f32 v41, 0x3f116cb1, v87, -v110
	v_dual_fmac_f32 v110, 0x3f116cb1, v87 :: v_dual_fmamk_f32 v137, v112, 0x3f116cb1, v115
	v_mul_f32_e32 v131, 0x3eedf032, v103
	v_fma_f32 v46, 0x3df6dbef, v87, -v111
	v_mul_f32_e32 v95, 0x3eedf032, v95
	v_fma_f32 v47, 0xbeb58ec6, v87, -v113
	v_fmac_f32_e32 v113, 0xbeb58ec6, v87
	v_fma_f32 v135, 0xbf3f9e67, v87, -v114
	v_dual_fmac_f32 v114, 0xbf3f9e67, v87 :: v_dual_add_f32 v145, v32, v28
	v_mul_f32_e32 v103, 0xbf29c268, v103
	v_fma_f32 v136, 0xbf788fa5, v87, -v109
	v_fmac_f32_e32 v109, 0xbf788fa5, v87
	v_fma_f32 v115, 0x3f116cb1, v112, -v115
	v_mul_f32_e32 v127, 0xbe750f2a, v93
	v_fma_f32 v116, 0x3df6dbef, v112, -v116
	v_fmamk_f32 v139, v112, 0xbeb58ec6, v117
	v_fma_f32 v117, 0xbeb58ec6, v112, -v117
	v_fma_f32 v118, 0xbf3f9e67, v112, -v118
	v_fmac_f32_e32 v111, 0x3df6dbef, v87
	v_fmamk_f32 v87, v112, 0x3f62ad3f, v107
	v_mul_f32_e32 v123, 0xbf6f5d39, v93
	v_dual_mul_f32 v93, 0x3eedf032, v93 :: v_dual_add_f32 v116, v61, v116
	v_fma_f32 v107, 0x3f62ad3f, v112, -v107
	v_add_f32_e32 v35, v39, v35
	v_fma_f32 v38, 0xbeb58ec6, v90, -v128
	v_fmac_f32_e32 v128, 0xbeb58ec6, v90
	v_fmamk_f32 v141, v112, 0xbf788fa5, v108
	v_fma_f32 v108, 0xbf788fa5, v112, -v108
	v_mul_f32_e32 v121, 0xbf7e222b, v89
	v_fma_f32 v112, 0x3f116cb1, v86, -v119
	v_dual_fmamk_f32 v142, v2, 0x3f116cb1, v120 :: v_dual_fmac_f32 v119, 0x3f116cb1, v86
	v_fma_f32 v43, 0x3f116cb1, v2, -v120
	v_fma_f32 v120, 0xbeb58ec6, v86, -v122
	;; [unrolled: 1-line block ×3, first 2 shown]
	v_fmac_f32_e32 v122, 0xbeb58ec6, v86
	v_fmac_f32_e32 v124, 0xbf788fa5, v90
	v_fma_f32 v36, 0xbf788fa5, v86, -v126
	v_fmac_f32_e32 v126, 0xbf788fa5, v86
	v_add_f32_e32 v146, v33, v29
	v_fma_f32 v42, 0x3df6dbef, v90, -v3
	v_dual_fmac_f32 v3, 0x3df6dbef, v90 :: v_dual_add_f32 v136, v60, v136
	v_add_f32_e32 v147, v34, v30
	v_dual_add_f32 v35, v35, v31 :: v_dual_fmamk_f32 v28, v2, 0xbf3f9e67, v130
	v_fma_f32 v29, 0xbf3f9e67, v2, -v130
	v_fma_f32 v31, 0x3df6dbef, v86, -v132
	v_dual_fmamk_f32 v32, v2, 0x3df6dbef, v133 :: v_dual_add_f32 v33, v60, v40
	v_add_f32_e32 v34, v61, v87
	v_dual_add_f32 v40, v60, v106 :: v_dual_add_f32 v87, v61, v107
	v_dual_fmac_f32 v132, 0x3df6dbef, v86 :: v_dual_add_f32 v41, v60, v41
	v_add_f32_e32 v106, v61, v137
	v_fma_f32 v30, 0x3f62ad3f, v90, -v131
	v_dual_add_f32 v107, v60, v110 :: v_dual_add_f32 v110, v61, v115
	v_fmamk_f32 v37, v2, 0xbf788fa5, v127
	v_fma_f32 v39, 0xbf788fa5, v2, -v127
	v_fma_f32 v127, 0xbf3f9e67, v86, -v129
	v_fmac_f32_e32 v129, 0xbf3f9e67, v86
	v_add_f32_e32 v46, v60, v46
	v_add_f32_e32 v115, v61, v138
	v_dual_add_f32 v47, v60, v47 :: v_dual_mul_f32 v156, 0x3e750f2a, v96
	v_dual_add_f32 v130, v61, v139 :: v_dual_fmamk_f32 v143, v2, 0xbeb58ec6, v123
	v_add_f32_e32 v138, v61, v141
	v_fma_f32 v123, 0xbeb58ec6, v2, -v123
	v_add_f32_e32 v113, v60, v113
	v_dual_add_f32 v117, v61, v117 :: v_dual_fmamk_f32 v148, v88, 0xbf788fa5, v125
	v_add_f32_e32 v114, v60, v114
	v_dual_add_f32 v118, v61, v118 :: v_dual_add_f32 v111, v60, v111
	v_dual_mul_f32 v154, 0x3eedf032, v96 :: v_dual_add_f32 v135, v60, v135
	v_add_f32_e32 v60, v60, v109
	v_fma_f32 v109, 0x3df6dbef, v2, -v133
	v_fma_f32 v133, 0x3f62ad3f, v86, -v95
	v_dual_fmac_f32 v95, 0x3f62ad3f, v86 :: v_dual_add_f32 v40, v119, v40
	v_fmamk_f32 v86, v2, 0x3f62ad3f, v93
	v_fma_f32 v2, 0x3f62ad3f, v2, -v93
	v_fma_f32 v93, 0xbf3f9e67, v90, -v103
	v_dual_mul_f32 v139, 0x3eedf032, v89 :: v_dual_mul_f32 v164, 0x3eedf032, v92
	v_add_f32_e32 v137, v61, v140
	v_add_f32_e32 v61, v61, v108
	v_fma_f32 v108, 0x3f116cb1, v90, -v134
	v_fmac_f32_e32 v134, 0x3f116cb1, v90
	v_mul_f32_e32 v140, 0xbf52af12, v89
	v_dual_mul_f32 v176, 0x3eedf032, v101 :: v_dual_mul_f32 v203, 0x3eedf032, v102
	v_fmac_f32_e32 v131, 0x3f62ad3f, v90
	v_mul_f32_e32 v194, 0xbf29c268, v105
	v_fmac_f32_e32 v103, 0xbf3f9e67, v90
	v_mul_f32_e32 v90, 0x3f6f5d39, v89
	v_dual_mul_f32 v89, 0xbf29c268, v89 :: v_dual_mul_f32 v204, 0xbf29c268, v102
	v_dual_fmamk_f32 v141, v88, 0x3df6dbef, v121 :: v_dual_add_f32 v34, v142, v34
	v_fma_f32 v121, 0x3df6dbef, v88, -v121
	v_fma_f32 v125, 0xbf788fa5, v88, -v125
	v_fmamk_f32 v149, v88, 0xbeb58ec6, v90
	v_fma_f32 v90, 0xbeb58ec6, v88, -v90
	v_fmamk_f32 v150, v88, 0x3f62ad3f, v139
	;; [unrolled: 2-line block ×4, first 2 shown]
	v_fma_f32 v88, 0xbf3f9e67, v88, -v89
	v_mul_f32_e32 v89, 0xbf6f5d39, v96
	v_dual_mul_f32 v153, 0x3f29c268, v96 :: v_dual_add_f32 v36, v36, v46
	v_dual_mul_f32 v155, 0xbf7e222b, v96 :: v_dual_add_f32 v46, v126, v111
	v_mul_f32_e32 v96, 0x3f52af12, v96
	v_dual_mul_f32 v165, 0xbf7e222b, v92 :: v_dual_add_f32 v114, v132, v114
	v_fma_f32 v157, 0xbeb58ec6, v94, -v89
	v_fmac_f32_e32 v89, 0xbeb58ec6, v94
	v_fma_f32 v158, 0xbf3f9e67, v94, -v153
	v_fmac_f32_e32 v153, 0xbf3f9e67, v94
	;; [unrolled: 2-line block ×4, first 2 shown]
	v_fma_f32 v161, 0xbf788fa5, v94, -v156
	v_fma_f32 v162, 0x3f116cb1, v94, -v96
	v_mul_f32_e32 v163, 0x3f29c268, v92
	v_dual_mul_f32 v166, 0x3e750f2a, v92 :: v_dual_mul_f32 v175, 0x3e750f2a, v101
	v_fmac_f32_e32 v156, 0xbf788fa5, v94
	v_dual_fmamk_f32 v170, v91, 0x3df6dbef, v165 :: v_dual_add_f32 v33, v112, v33
	v_mul_f32_e32 v195, 0x3f52af12, v105
	v_fmac_f32_e32 v96, 0x3f116cb1, v94
	v_mul_f32_e32 v94, 0xbf6f5d39, v92
	v_dual_mul_f32 v92, 0x3f52af12, v92 :: v_dual_mul_f32 v205, 0x3f52af12, v102
	v_dual_fmamk_f32 v169, v91, 0x3f62ad3f, v164 :: v_dual_fmamk_f32 v208, v100, 0x3f62ad3f, v203
	s_delay_alu instid0(VALU_DEP_3)
	v_dual_fmamk_f32 v167, v91, 0xbeb58ec6, v94 :: v_dual_add_f32 v86, v86, v138
	v_fma_f32 v94, 0xbeb58ec6, v91, -v94
	v_fma_f32 v164, 0x3f62ad3f, v91, -v164
	;; [unrolled: 1-line block ×3, first 2 shown]
	v_dual_fmamk_f32 v172, v91, 0x3f116cb1, v92 :: v_dual_add_f32 v41, v120, v41
	v_mul_f32_e32 v173, 0x3f7e222b, v101
	v_dual_mul_f32 v174, 0xbf52af12, v101 :: v_dual_add_f32 v43, v43, v87
	v_dual_mul_f32 v185, 0x3e750f2a, v98 :: v_dual_add_f32 v42, v42, v33
	v_fmamk_f32 v171, v91, 0xbf788fa5, v166
	v_fma_f32 v166, 0xbf788fa5, v91, -v166
	v_add_f32_e32 v112, v31, v135
	s_delay_alu instid0(VALU_DEP_4)
	v_fmamk_f32 v190, v97, 0xbf788fa5, v185
	v_dual_fmamk_f32 v168, v91, 0xbf3f9e67, v163 :: v_dual_fmamk_f32 v209, v100, 0xbf3f9e67, v204
	v_fma_f32 v163, 0xbf3f9e67, v91, -v163
	v_fma_f32 v91, 0x3f116cb1, v91, -v92
	v_mul_f32_e32 v92, 0xbf29c268, v101
	v_mul_f32_e32 v101, 0xbf6f5d39, v101
	v_fma_f32 v178, 0x3df6dbef, v99, -v173
	v_dual_fmac_f32 v173, 0x3df6dbef, v99 :: v_dual_add_f32 v60, v95, v60
	s_delay_alu instid0(VALU_DEP_4)
	v_fma_f32 v177, 0xbf3f9e67, v99, -v92
	v_fmac_f32_e32 v92, 0xbf3f9e67, v99
	v_fma_f32 v179, 0x3f116cb1, v99, -v174
	v_dual_fmac_f32 v174, 0x3f116cb1, v99 :: v_dual_add_f32 v87, v143, v106
	v_fma_f32 v180, 0xbf788fa5, v99, -v175
	v_fmac_f32_e32 v175, 0xbf788fa5, v99
	v_fma_f32 v181, 0x3f62ad3f, v99, -v176
	v_fmac_f32_e32 v176, 0x3f62ad3f, v99
	v_fma_f32 v182, 0xbeb58ec6, v99, -v101
	v_dual_mul_f32 v183, 0x3f7e222b, v98 :: v_dual_add_f32 v2, v2, v61
	v_dual_mul_f32 v184, 0xbf52af12, v98 :: v_dual_add_f32 v37, v37, v115
	v_dual_mul_f32 v186, 0x3eedf032, v98 :: v_dual_mul_f32 v193, 0x3eedf032, v105
	v_dual_mul_f32 v196, 0xbf6f5d39, v105 :: v_dual_add_f32 v109, v109, v118
	v_fmac_f32_e32 v101, 0xbeb58ec6, v99
	v_mul_f32_e32 v99, 0xbf29c268, v98
	v_mul_f32_e32 v98, 0xbf6f5d39, v98
	v_dual_fmamk_f32 v188, v97, 0x3df6dbef, v183 :: v_dual_add_f32 v39, v39, v116
	v_fma_f32 v183, 0x3df6dbef, v97, -v183
	s_delay_alu instid0(VALU_DEP_4)
	v_dual_fmamk_f32 v187, v97, 0xbf3f9e67, v99 :: v_dual_add_f32 v36, v38, v36
	v_fma_f32 v99, 0xbf3f9e67, v97, -v99
	v_dual_fmamk_f32 v189, v97, 0x3f116cb1, v184 :: v_dual_fmamk_f32 v210, v100, 0x3f116cb1, v205
	v_fma_f32 v184, 0x3f116cb1, v97, -v184
	v_fma_f32 v185, 0xbf788fa5, v97, -v185
	v_fmamk_f32 v191, v97, 0x3f62ad3f, v186
	v_fma_f32 v186, 0x3f62ad3f, v97, -v186
	v_fmamk_f32 v192, v97, 0xbeb58ec6, v98
	v_fma_f32 v97, 0xbeb58ec6, v97, -v98
	v_dual_mul_f32 v98, 0xbe750f2a, v105 :: v_dual_add_f32 v47, v127, v47
	v_mul_f32_e32 v105, 0x3f7e222b, v105
	v_fma_f32 v198, 0x3f62ad3f, v104, -v193
	v_fma_f32 v199, 0xbf3f9e67, v104, -v194
	s_delay_alu instid0(VALU_DEP_4)
	v_fma_f32 v197, 0xbf788fa5, v104, -v98
	v_dual_fmac_f32 v98, 0xbf788fa5, v104 :: v_dual_add_f32 v111, v29, v117
	v_fmac_f32_e32 v194, 0xbf3f9e67, v104
	v_fma_f32 v200, 0x3f116cb1, v104, -v195
	v_fmac_f32_e32 v195, 0x3f116cb1, v104
	v_fma_f32 v201, 0xbeb58ec6, v104, -v196
	v_fmac_f32_e32 v196, 0xbeb58ec6, v104
	v_dual_mul_f32 v206, 0xbf6f5d39, v102 :: v_dual_add_f32 v115, v133, v136
	v_dual_add_f32 v106, v123, v110 :: v_dual_fmac_f32 v193, 0x3f62ad3f, v104
	v_dual_add_f32 v3, v3, v40 :: v_dual_add_f32 v2, v88, v2
	v_add_f32_e32 v40, v121, v43
	v_fma_f32 v202, 0x3df6dbef, v104, -v105
	v_dual_fmac_f32 v105, 0x3df6dbef, v104 :: v_dual_add_f32 v38, v128, v46
	v_mul_f32_e32 v104, 0xbe750f2a, v102
	v_mul_f32_e32 v102, 0x3f7e222b, v102
	v_fma_f32 v203, 0x3f62ad3f, v100, -v203
	v_fma_f32 v204, 0xbf3f9e67, v100, -v204
	;; [unrolled: 1-line block ×3, first 2 shown]
	v_fmamk_f32 v211, v100, 0xbeb58ec6, v206
	v_fma_f32 v206, 0xbeb58ec6, v100, -v206
	v_fmamk_f32 v212, v100, 0x3df6dbef, v102
	v_add_f32_e32 v110, v129, v113
	v_add_f32_e32 v113, v32, v137
	v_dual_fmamk_f32 v207, v100, 0xbf788fa5, v104 :: v_dual_add_f32 v30, v30, v47
	v_fma_f32 v104, 0xbf788fa5, v100, -v104
	v_fma_f32 v100, 0x3df6dbef, v100, -v102
	v_dual_add_f32 v102, v122, v107 :: v_dual_add_f32 v107, v28, v130
	v_mul_f32_e32 v28, 0xbeedf032, v79
	v_add_f32_e32 v43, v148, v87
	v_dual_add_f32 v39, v90, v39 :: v_dual_add_f32 v36, v159, v36
	s_delay_alu instid0(VALU_DEP_4) | instskip(NEXT) | instid1(VALU_DEP_4)
	v_dual_add_f32 v87, v124, v102 :: v_dual_add_f32 v40, v94, v40
	v_fma_f32 v29, 0x3f62ad3f, v68, -v28
	v_add_f32_e32 v102, v125, v106
	v_add_f32_e32 v106, v108, v112
	;; [unrolled: 1-line block ×3, first 2 shown]
	s_delay_alu instid0(VALU_DEP_4) | instskip(SKIP_4) | instid1(VALU_DEP_4)
	v_dual_add_f32 v90, v139, v111 :: v_dual_add_f32 v31, v0, v29
	v_mul_f32_e32 v29, 0xbf52af12, v80
	v_dual_add_f32 v107, v151, v113 :: v_dual_add_f32 v38, v154, v38
	v_mul_f32_e32 v33, 0xbf7e222b, v82
	v_dual_add_f32 v37, v149, v37 :: v_dual_add_f32 v88, v163, v102
	v_fma_f32 v32, 0x3f116cb1, v69, -v29
	v_add_f32_e32 v86, v152, v86
	v_add_f32_e32 v102, v171, v107
	;; [unrolled: 1-line block ×3, first 2 shown]
	s_delay_alu instid0(VALU_DEP_4) | instskip(SKIP_3) | instid1(VALU_DEP_3)
	v_dual_add_f32 v60, v103, v60 :: v_dual_add_f32 v61, v32, v31
	v_dual_mul_f32 v32, 0x3f62ad3f, v71 :: v_dual_add_f32 v109, v140, v109
	v_dual_add_f32 v46, v170, v46 :: v_dual_add_f32 v3, v89, v3
	v_add_f32_e32 v2, v91, v2
	v_fmamk_f32 v31, v83, 0xbeedf032, v32
	v_add_f32_e32 v91, v145, v12
	v_dual_add_f32 v41, v144, v41 :: v_dual_add_f32 v42, v157, v42
	v_add_f32_e32 v47, v131, v110
	s_delay_alu instid0(VALU_DEP_4)
	v_add_f32_e32 v95, v1, v31
	v_mul_f32_e32 v31, 0x3f116cb1, v72
	v_add_f32_e32 v37, v169, v37
	v_add_f32_e32 v94, v161, v106
	;; [unrolled: 1-line block ×5, first 2 shown]
	v_dual_fmamk_f32 v116, v81, 0xbf52af12, v31 :: v_dual_add_f32 v15, v35, v15
	v_add_f32_e32 v94, v181, v94
	v_dual_add_f32 v108, v190, v46 :: v_dual_add_f32 v35, v91, v8
	v_add_f32_e32 v106, v176, v106
	s_delay_alu instid0(VALU_DEP_4) | instskip(SKIP_3) | instid1(VALU_DEP_3)
	v_dual_add_f32 v95, v116, v95 :: v_dual_add_f32 v116, v141, v34
	v_fma_f32 v34, 0x3df6dbef, v44, -v33
	v_dual_add_f32 v41, v158, v41 :: v_dual_add_f32 v40, v99, v40
	v_dual_add_f32 v47, v155, v47 :: v_dual_add_f32 v10, v96, v10
	;; [unrolled: 1-line block ×3, first 2 shown]
	v_dual_mul_f32 v34, 0x3df6dbef, v73 :: v_dual_add_f32 v11, v15, v11
	s_delay_alu instid0(VALU_DEP_3) | instskip(SKIP_1) | instid1(VALU_DEP_3)
	v_dual_add_f32 v10, v10, v26 :: v_dual_add_f32 v15, v35, v24
	v_dual_add_f32 v93, v93, v115 :: v_dual_add_f32 v86, v172, v86
	v_fmamk_f32 v61, v78, 0xbf7e222b, v34
	v_add_f32_e32 v43, v168, v43
	v_add_f32_e32 v87, v153, v87
	v_dual_add_f32 v107, v166, v109 :: v_dual_add_f32 v88, v183, v88
	s_delay_alu instid0(VALU_DEP_4) | instskip(SKIP_3) | instid1(VALU_DEP_3)
	v_add_f32_e32 v95, v61, v95
	v_dual_add_f32 v61, v167, v116 :: v_dual_add_f32 v42, v177, v42
	v_dual_add_f32 v3, v92, v3 :: v_dual_add_f32 v92, v146, v13
	;; [unrolled: 1-line block ×4, first 2 shown]
	v_add_f32_e32 v11, v11, v27
	v_dual_add_f32 v15, v15, v20 :: v_dual_add_f32 v10, v10, v22
	v_dual_add_f32 v91, v92, v9 :: v_dual_add_f32 v102, v191, v102
	v_add_f32_e32 v89, v160, v30
	v_dual_add_f32 v87, v173, v87 :: v_dual_add_nc_u32 v30, 39, v50
	v_dual_add_f32 v38, v203, v88 :: v_dual_add_f32 v35, v198, v41
	v_add_f32_e32 v16, v15, v16
	v_dual_add_f32 v41, v194, v96 :: v_dual_sub_f32 v22, v13, v9
	v_dual_add_f32 v88, v196, v106 :: v_dual_add_f32 v11, v11, v23
	v_dual_add_f32 v39, v164, v39 :: v_dual_mul_f32 v14, 0xbf6f5d39, v84
	v_add_f32_e32 v24, v91, v25
	v_add_f32_e32 v92, v189, v37
	v_dual_add_f32 v25, v207, v61 :: v_dual_add_f32 v10, v10, v18
	v_add_f32_e32 v37, v193, v87
	v_dual_add_f32 v87, v211, v102 :: v_dual_add_f32 v4, v16, v4
	;; [unrolled: 2-line block ×3, first 2 shown]
	v_add_f32_e32 v43, v188, v43
	v_add_f32_e32 v91, v179, v36
	v_dual_add_f32 v89, v180, v89 :: v_dual_add_f32 v86, v201, v94
	v_fma_f32 v18, 0xbeb58ec6, v45, -v14
	v_add_f32_e32 v15, v9, v13
	v_dual_mul_f32 v9, 0xbf29c268, v85 :: v_dual_add_f32 v4, v4, v58
	v_add_f32_e32 v7, v11, v7
	v_mul_f32_e32 v11, 0xbeb58ec6, v74
	v_add_f32_e32 v99, v184, v39
	v_dual_add_f32 v109, v175, v47 :: v_dual_add_f32 v46, v200, v89
	v_dual_add_f32 v107, v186, v107 :: v_dual_add_f32 v20, v24, v21
	;; [unrolled: 1-line block ×4, first 2 shown]
	v_add_f32_e32 v2, v98, v3
	v_add_f32_e32 v39, v199, v91
	;; [unrolled: 1-line block ×4, first 2 shown]
	v_dual_add_f32 v91, v212, v110 :: v_dual_add_f32 v16, v18, v103
	v_add_f32_e32 v6, v10, v6
	v_add_f32_e32 v10, v8, v12
	v_dual_sub_f32 v21, v12, v8 :: v_dual_fmamk_f32 v8, v77, 0xbf6f5d39, v11
	v_mul_f32_e32 v12, 0xbf3f9e67, v75
	v_fma_f32 v19, 0xbf3f9e67, v70, -v9
	v_add_f32_e32 v3, v104, v40
	v_add_f32_e32 v40, v209, v92
	v_dual_add_f32 v101, v101, v60 :: v_dual_add_f32 v42, v204, v99
	v_dual_add_f32 v60, v195, v109 :: v_dual_add_f32 v89, v206, v107
	v_add_f32_e32 v90, v202, v93
	v_dual_add_f32 v93, v100, v97 :: v_dual_add_f32 v16, v19, v16
	v_add_f32_e32 v17, v20, v17
	v_add_f32_e32 v18, v8, v95
	v_fmamk_f32 v20, v76, 0xbf29c268, v12
	v_mul_f32_e32 v8, 0xbe750f2a, v22
	v_mul_f32_e32 v13, 0xbf788fa5, v15
	v_add_f32_e32 v5, v17, v5
	s_delay_alu instid0(VALU_DEP_4) | instskip(NEXT) | instid1(VALU_DEP_4)
	v_dual_add_f32 v92, v105, v101 :: v_dual_add_f32 v17, v20, v18
	v_fma_f32 v18, 0xbf788fa5, v10, -v8
	s_delay_alu instid0(VALU_DEP_4) | instskip(SKIP_1) | instid1(VALU_DEP_3)
	v_fmamk_f32 v19, v21, 0xbe750f2a, v13
	v_mul_u32_u24_e32 v20, 0x68, v50
	v_dual_add_f32 v5, v5, v59 :: v_dual_add_f32 v26, v18, v16
	s_delay_alu instid0(VALU_DEP_3) | instskip(NEXT) | instid1(VALU_DEP_3)
	v_add_f32_e32 v27, v19, v17
	v_add3_u32 v16, 0, v20, v66
	ds_store_2addr_b64 v16, v[6:7], v[24:25] offset1:1
	ds_store_2addr_b64 v16, v[35:36], v[39:40] offset0:2 offset1:3
	ds_store_2addr_b64 v16, v[46:47], v[86:87] offset0:4 offset1:5
	;; [unrolled: 1-line block ×5, first 2 shown]
	ds_store_b64 v16, v[2:3] offset:96
	v_cmpx_gt_u32_e32 3, v50
	s_cbranch_execz .LBB0_20
; %bb.19:
	v_mul_f32_e32 v25, 0xbe750f2a, v83
	v_dual_mul_f32 v42, 0x3eedf032, v81 :: v_dual_mul_f32 v43, 0x3eedf032, v80
	v_mul_f32_e32 v16, 0x3f62ad3f, v68
	v_mul_f32_e32 v46, 0xbf29c268, v78
	v_dual_mul_f32 v47, 0xbf29c268, v82 :: v_dual_mul_f32 v88, 0xbf29c268, v83
	s_delay_alu instid0(VALU_DEP_4) | instskip(SKIP_4) | instid1(VALU_DEP_4)
	v_fma_f32 v24, 0x3f62ad3f, v69, -v43
	v_fmamk_f32 v6, v71, 0xbf788fa5, v25
	v_fmamk_f32 v23, v72, 0x3f62ad3f, v42
	v_dual_mul_f32 v58, 0x3f52af12, v77 :: v_dual_mul_f32 v59, 0x3f52af12, v84
	v_dual_mul_f32 v60, 0xbf6f5d39, v76 :: v_dual_mul_f32 v61, 0xbf6f5d39, v85
	v_dual_add_f32 v6, v1, v6 :: v_dual_mul_f32 v17, 0x3f116cb1, v69
	v_dual_mul_f32 v87, 0x3f7e222b, v22 :: v_dual_mul_f32 v90, 0x3f7e222b, v81
	s_delay_alu instid0(VALU_DEP_2) | instskip(SKIP_2) | instid1(VALU_DEP_4)
	v_dual_mul_f32 v91, 0x3f7e222b, v80 :: v_dual_add_f32 v6, v23, v6
	v_fmamk_f32 v23, v73, 0xbf3f9e67, v46
	v_mul_f32_e32 v41, 0xbe750f2a, v79
	v_fma_f32 v35, 0x3df6dbef, v10, -v87
	s_delay_alu instid0(VALU_DEP_4)
	v_fma_f32 v36, 0x3df6dbef, v69, -v91
	v_mul_f32_e32 v93, 0xbf52af12, v82
	v_add_f32_e32 v6, v23, v6
	v_fma_f32 v7, 0xbf788fa5, v68, -v41
	v_mul_f32_e32 v20, 0xbf52af12, v81
	v_mul_f32_e32 v115, 0xbe750f2a, v80
	;; [unrolled: 1-line block ×3, first 2 shown]
	v_dual_mul_f32 v105, 0x3eedf032, v82 :: v_dual_mul_f32 v118, 0x3eedf032, v77
	v_add_f32_e32 v7, v0, v7
	v_mul_f32_e32 v117, 0x3f6f5d39, v82
	v_mul_f32_e32 v82, 0xbe750f2a, v82
	v_fma_f32 v40, 0xbf788fa5, v69, -v115
	v_mul_f32_e32 v103, 0x3f29c268, v80
	v_add_f32_e32 v7, v24, v7
	v_fma_f32 v24, 0xbf3f9e67, v44, -v47
	v_dual_mul_f32 v97, 0x3eedf032, v85 :: v_dual_mul_f32 v104, 0x3eedf032, v78
	s_delay_alu instid0(VALU_DEP_4) | instskip(SKIP_1) | instid1(VALU_DEP_4)
	v_fma_f32 v38, 0xbf3f9e67, v69, -v103
	v_dual_mul_f32 v99, 0xbf6f5d39, v22 :: v_dual_mul_f32 v100, 0xbf6f5d39, v83
	v_add_f32_e32 v7, v24, v7
	v_fma_f32 v24, 0x3f116cb1, v45, -v59
	v_mul_f32_e32 v86, 0x3f7e222b, v21
	s_delay_alu instid0(VALU_DEP_4) | instskip(SKIP_1) | instid1(VALU_DEP_4)
	v_fma_f32 v37, 0xbeb58ec6, v10, -v99
	v_dual_mul_f32 v101, 0xbf6f5d39, v79 :: v_dual_mul_f32 v80, 0xbf6f5d39, v80
	v_add_f32_e32 v7, v24, v7
	v_fma_f32 v24, 0xbeb58ec6, v70, -v61
	v_dual_mul_f32 v107, 0xbf7e222b, v84 :: v_dual_mul_f32 v112, 0xbf7e222b, v83
	s_delay_alu instid0(VALU_DEP_4) | instskip(SKIP_1) | instid1(VALU_DEP_4)
	v_fma_f32 v126, 0xbeb58ec6, v69, -v80
	v_mul_f32_e32 v89, 0xbf29c268, v79
	v_dual_add_f32 v24, v24, v7 :: v_dual_fmamk_f32 v23, v74, 0x3f116cb1, v58
	v_mul_f32_e32 v19, 0x3df6dbef, v44
	v_mul_f32_e32 v109, 0x3e750f2a, v85
	;; [unrolled: 1-line block ×3, first 2 shown]
	s_delay_alu instid0(VALU_DEP_4) | instskip(SKIP_2) | instid1(VALU_DEP_4)
	v_dual_mul_f32 v113, 0xbf7e222b, v79 :: v_dual_add_f32 v6, v23, v6
	v_fmamk_f32 v23, v75, 0xbeb58ec6, v60
	v_dual_mul_f32 v125, 0xbe750f2a, v78 :: v_dual_mul_f32 v132, 0xbe750f2a, v21
	v_fma_f32 v39, 0x3f116cb1, v10, -v111
	v_dual_mul_f32 v119, 0x3eedf032, v84 :: v_dual_mul_f32 v130, 0x3eedf032, v22
	s_delay_alu instid0(VALU_DEP_4)
	v_add_f32_e32 v6, v23, v6
	v_fmamk_f32 v23, v15, 0x3df6dbef, v86
	v_mul_f32_e32 v18, 0xbeedf032, v83
	v_fma_f32 v25, 0xbf788fa5, v71, -v25
	v_mul_f32_e32 v121, 0xbf52af12, v85
	v_mul_f32_e32 v123, 0xbf29c268, v22
	v_add_f32_e32 v7, v23, v6
	v_add_f32_e32 v6, v35, v24
	v_fma_f32 v24, 0xbf3f9e67, v68, -v89
	v_fmamk_f32 v35, v72, 0x3df6dbef, v90
	v_mul_f32_e32 v92, 0xbf52af12, v78
	v_mul_f32_e32 v94, 0x3e750f2a, v77
	s_delay_alu instid0(VALU_DEP_4)
	v_dual_mul_f32 v83, 0xbf52af12, v83 :: v_dual_add_f32 v24, v0, v24
	v_mul_f32_e32 v79, 0xbf52af12, v79
	v_fmac_f32_e32 v41, 0xbf788fa5, v68
	v_mul_f32_e32 v96, 0x3eedf032, v76
	v_dual_fmac_f32 v43, 0x3f62ad3f, v69 :: v_dual_add_f32 v16, v16, v28
	v_add_f32_e32 v24, v36, v24
	v_fma_f32 v36, 0x3f116cb1, v44, -v93
	v_fmamk_f32 v23, v71, 0xbf3f9e67, v88
	v_mul_f32_e32 v98, 0xbf6f5d39, v21
	v_add_f32_e32 v41, v0, v41
	v_fmac_f32_e32 v47, 0xbf3f9e67, v44
	s_delay_alu instid0(VALU_DEP_4) | instskip(SKIP_4) | instid1(VALU_DEP_4)
	v_dual_add_f32 v24, v36, v24 :: v_dual_add_f32 v23, v1, v23
	v_fma_f32 v36, 0xbf788fa5, v45, -v95
	v_mul_f32_e32 v102, 0x3f29c268, v81
	v_fmac_f32_e32 v59, 0x3f116cb1, v45
	v_fmac_f32_e32 v61, 0xbeb58ec6, v70
	v_dual_add_f32 v23, v35, v23 :: v_dual_add_f32 v24, v36, v24
	v_fma_f32 v36, 0x3f62ad3f, v70, -v97
	v_fmamk_f32 v35, v73, 0x3f116cb1, v92
	v_mul_f32_e32 v106, 0xbf7e222b, v77
	v_mul_f32_e32 v108, 0x3e750f2a, v76
	s_delay_alu instid0(VALU_DEP_4) | instskip(NEXT) | instid1(VALU_DEP_4)
	v_dual_fmac_f32 v87, 0x3df6dbef, v10 :: v_dual_add_f32 v36, v36, v24
	v_add_f32_e32 v23, v35, v23
	v_fmamk_f32 v35, v74, 0xbf788fa5, v94
	v_mul_f32_e32 v110, 0x3f52af12, v21
	v_fmac_f32_e32 v93, 0x3f116cb1, v44
	v_fmac_f32_e32 v115, 0xbf788fa5, v69
	v_fmac_f32_e32 v97, 0x3f62ad3f, v70
	v_add_f32_e32 v23, v35, v23
	v_fmamk_f32 v35, v75, 0x3f62ad3f, v96
	v_mul_f32_e32 v114, 0xbe750f2a, v81
	v_mul_f32_e32 v81, 0xbf6f5d39, v81
	v_fmac_f32_e32 v99, 0xbeb58ec6, v10
	s_delay_alu instid0(VALU_DEP_4) | instskip(SKIP_4) | instid1(VALU_DEP_4)
	v_dual_mul_f32 v116, 0x3f6f5d39, v78 :: v_dual_add_f32 v23, v35, v23
	v_fmamk_f32 v35, v15, 0xbeb58ec6, v98
	v_mul_f32_e32 v120, 0xbf52af12, v76
	v_mul_f32_e32 v122, 0xbf29c268, v21
	;; [unrolled: 1-line block ×3, first 2 shown]
	v_dual_fmac_f32 v89, 0xbf3f9e67, v68 :: v_dual_add_f32 v24, v35, v23
	v_fmamk_f32 v35, v71, 0xbeb58ec6, v100
	v_add_f32_e32 v23, v37, v36
	v_fma_f32 v36, 0xbeb58ec6, v68, -v101
	v_fmamk_f32 v37, v72, 0xbf3f9e67, v102
	s_delay_alu instid0(VALU_DEP_4) | instskip(SKIP_1) | instid1(VALU_DEP_4)
	v_dual_sub_f32 v18, v32, v18 :: v_dual_add_f32 v35, v1, v35
	v_mul_f32_e32 v128, 0x3f7e222b, v76
	v_add_f32_e32 v36, v0, v36
	v_mul_f32_e32 v76, 0xbf29c268, v76
	v_fma_f32 v124, 0xbf3f9e67, v10, -v123
	v_add_f32_e32 v35, v37, v35
	s_delay_alu instid0(VALU_DEP_4) | instskip(SKIP_3) | instid1(VALU_DEP_4)
	v_dual_fmamk_f32 v37, v73, 0x3f62ad3f, v104 :: v_dual_add_f32 v36, v38, v36
	v_fma_f32 v38, 0x3f62ad3f, v44, -v105
	v_fmac_f32_e32 v105, 0x3f62ad3f, v44
	v_fmac_f32_e32 v123, 0xbf3f9e67, v10
	v_add_f32_e32 v35, v37, v35
	v_fmamk_f32 v37, v74, 0x3df6dbef, v106
	v_add_f32_e32 v36, v38, v36
	v_fma_f32 v38, 0x3df6dbef, v45, -v107
	v_fmac_f32_e32 v107, 0x3df6dbef, v45
	v_mul_f32_e32 v85, 0x3f7e222b, v85
	v_add_f32_e32 v35, v37, v35
	s_delay_alu instid0(VALU_DEP_4) | instskip(SKIP_1) | instid1(VALU_DEP_2)
	v_dual_fmamk_f32 v37, v75, 0xbf788fa5, v108 :: v_dual_add_f32 v36, v38, v36
	v_fma_f32 v38, 0xbf788fa5, v70, -v109
	v_dual_mul_f32 v78, 0xbf7e222b, v78 :: v_dual_add_f32 v35, v37, v35
	s_delay_alu instid0(VALU_DEP_2) | instskip(NEXT) | instid1(VALU_DEP_1)
	v_dual_fmamk_f32 v37, v15, 0x3f116cb1, v110 :: v_dual_add_f32 v38, v38, v36
	v_dual_fmac_f32 v101, 0xbeb58ec6, v68 :: v_dual_add_f32 v36, v37, v35
	v_fmamk_f32 v37, v71, 0x3df6dbef, v112
	s_delay_alu instid0(VALU_DEP_3) | instskip(SKIP_3) | instid1(VALU_DEP_3)
	v_add_f32_e32 v35, v39, v38
	v_fma_f32 v38, 0x3df6dbef, v68, -v113
	v_fmamk_f32 v39, v72, 0xbf788fa5, v114
	v_fmac_f32_e32 v95, 0xbf788fa5, v45
	v_dual_add_f32 v37, v1, v37 :: v_dual_add_f32 v38, v0, v38
	s_delay_alu instid0(VALU_DEP_1) | instskip(NEXT) | instid1(VALU_DEP_2)
	v_add_f32_e32 v37, v39, v37
	v_dual_fmamk_f32 v39, v73, 0xbeb58ec6, v116 :: v_dual_add_f32 v38, v40, v38
	v_fma_f32 v40, 0xbeb58ec6, v44, -v117
	v_fmac_f32_e32 v103, 0xbf3f9e67, v69
	v_mul_f32_e32 v127, 0x3f29c268, v77
	s_delay_alu instid0(VALU_DEP_4) | instskip(NEXT) | instid1(VALU_DEP_4)
	v_add_f32_e32 v37, v39, v37
	v_dual_fmamk_f32 v39, v74, 0x3f62ad3f, v118 :: v_dual_add_f32 v38, v40, v38
	v_fma_f32 v40, 0x3f62ad3f, v45, -v119
	v_fmac_f32_e32 v119, 0x3f62ad3f, v45
	v_mul_f32_e32 v77, 0xbf6f5d39, v77
	s_delay_alu instid0(VALU_DEP_4) | instskip(NEXT) | instid1(VALU_DEP_4)
	v_add_f32_e32 v37, v39, v37
	v_dual_fmamk_f32 v39, v75, 0x3f116cb1, v120 :: v_dual_add_f32 v38, v40, v38
	v_fma_f32 v40, 0x3f116cb1, v70, -v121
	s_delay_alu instid0(VALU_DEP_4) | instskip(NEXT) | instid1(VALU_DEP_3)
	v_sub_f32_e32 v11, v11, v77
	v_add_f32_e32 v37, v39, v37
	s_delay_alu instid0(VALU_DEP_3) | instskip(NEXT) | instid1(VALU_DEP_1)
	v_dual_fmamk_f32 v39, v15, 0xbf3f9e67, v122 :: v_dual_add_f32 v40, v40, v38
	v_dual_fmac_f32 v109, 0xbf788fa5, v70 :: v_dual_add_f32 v38, v39, v37
	v_fmamk_f32 v39, v71, 0x3f116cb1, v83
	s_delay_alu instid0(VALU_DEP_3) | instskip(SKIP_4) | instid1(VALU_DEP_4)
	v_add_f32_e32 v37, v124, v40
	v_fma_f32 v40, 0x3f116cb1, v68, -v79
	v_fmamk_f32 v124, v72, 0xbeb58ec6, v81
	v_fmac_f32_e32 v111, 0x3f116cb1, v10
	v_dual_add_f32 v39, v1, v39 :: v_dual_fmac_f32 v80, 0xbeb58ec6, v69
	v_add_f32_e32 v40, v0, v40
	s_delay_alu instid0(VALU_DEP_2) | instskip(NEXT) | instid1(VALU_DEP_2)
	v_dual_add_f32 v39, v124, v39 :: v_dual_fmamk_f32 v124, v73, 0xbf788fa5, v125
	v_add_f32_e32 v40, v126, v40
	v_fma_f32 v126, 0xbf788fa5, v44, -v82
	v_dual_fmac_f32 v82, 0xbf788fa5, v44 :: v_dual_add_f32 v41, v43, v41
	s_delay_alu instid0(VALU_DEP_4) | instskip(NEXT) | instid1(VALU_DEP_3)
	v_dual_add_f32 v39, v124, v39 :: v_dual_fmamk_f32 v124, v74, 0xbf3f9e67, v127
	v_add_f32_e32 v40, v126, v40
	v_fma_f32 v126, 0xbf3f9e67, v45, -v84
	s_delay_alu instid0(VALU_DEP_4) | instskip(SKIP_2) | instid1(VALU_DEP_4)
	v_add_f32_e32 v41, v47, v41
	v_fma_f32 v47, 0x3df6dbef, v71, -v112
	v_dual_add_f32 v39, v124, v39 :: v_dual_fmamk_f32 v124, v75, 0x3df6dbef, v128
	v_dual_mul_f32 v129, 0x3eedf032, v21 :: v_dual_add_f32 v40, v126, v40
	v_fma_f32 v126, 0x3df6dbef, v70, -v85
	v_fma_f32 v21, 0xbf3f9e67, v71, -v88
	s_delay_alu instid0(VALU_DEP_3) | instskip(NEXT) | instid1(VALU_DEP_3)
	v_dual_add_f32 v22, v124, v39 :: v_dual_fmamk_f32 v39, v15, 0x3f62ad3f, v129
	v_dual_add_f32 v41, v59, v41 :: v_dual_add_f32 v124, v126, v40
	s_delay_alu instid0(VALU_DEP_3) | instskip(SKIP_1) | instid1(VALU_DEP_4)
	v_add_f32_e32 v21, v1, v21
	v_fma_f32 v126, 0x3f62ad3f, v10, -v130
	v_add_f32_e32 v40, v39, v22
	v_add_f32_e32 v22, v1, v25
	v_fma_f32 v25, 0x3f62ad3f, v72, -v42
	v_fma_f32 v42, 0x3df6dbef, v72, -v90
	v_dual_add_f32 v39, v126, v124 :: v_dual_mul_f32 v126, 0xbf788fa5, v10
	v_fmac_f32_e32 v84, 0xbf3f9e67, v45
	s_delay_alu instid0(VALU_DEP_4) | instskip(SKIP_4) | instid1(VALU_DEP_4)
	v_add_f32_e32 v22, v25, v22
	v_fma_f32 v25, 0xbf3f9e67, v73, -v46
	v_add_f32_e32 v21, v42, v21
	v_fma_f32 v42, 0x3f116cb1, v73, -v92
	v_dual_add_f32 v43, v0, v89 :: v_dual_add_f32 v8, v126, v8
	v_add_f32_e32 v22, v25, v22
	v_fma_f32 v25, 0x3f116cb1, v74, -v58
	s_delay_alu instid0(VALU_DEP_4) | instskip(SKIP_2) | instid1(VALU_DEP_4)
	v_add_f32_e32 v21, v42, v21
	v_fma_f32 v42, 0xbf788fa5, v74, -v94
	v_fmac_f32_e32 v130, 0x3f62ad3f, v10
	v_dual_fmac_f32 v91, 0x3df6dbef, v69 :: v_dual_add_f32 v22, v25, v22
	v_fma_f32 v25, 0xbeb58ec6, v75, -v60
	v_fma_f32 v46, 0xbf3f9e67, v72, -v102
	v_add_f32_e32 v58, v1, v47
	s_delay_alu instid0(VALU_DEP_4)
	v_add_f32_e32 v43, v91, v43
	v_fma_f32 v59, 0xbf788fa5, v72, -v114
	v_add_f32_e32 v22, v25, v22
	v_fma_f32 v25, 0x3df6dbef, v15, -v86
	v_fmac_f32_e32 v113, 0x3df6dbef, v68
	v_fmac_f32_e32 v117, 0xbeb58ec6, v44
	;; [unrolled: 1-line block ×3, first 2 shown]
	s_delay_alu instid0(VALU_DEP_4) | instskip(SKIP_4) | instid1(VALU_DEP_4)
	v_dual_fmac_f32 v79, 0x3f116cb1, v68 :: v_dual_add_f32 v22, v25, v22
	v_add_f32_e32 v25, v61, v41
	v_add_f32_e32 v41, v42, v21
	v_fma_f32 v42, 0x3f62ad3f, v75, -v96
	v_fma_f32 v60, 0xbeb58ec6, v72, -v81
	v_dual_mul_f32 v124, 0xbf3f9e67, v70 :: v_dual_add_f32 v21, v87, v25
	v_fma_f32 v25, 0xbeb58ec6, v71, -v100
	s_delay_alu instid0(VALU_DEP_4) | instskip(SKIP_1) | instid1(VALU_DEP_4)
	v_add_f32_e32 v41, v42, v41
	v_fma_f32 v42, 0xbeb58ec6, v15, -v98
	v_add_f32_e32 v9, v124, v9
	v_mul_u32_u24_e32 v10, 0x68, v30
	v_add_f32_e32 v25, v1, v25
	s_delay_alu instid0(VALU_DEP_4) | instskip(SKIP_1) | instid1(VALU_DEP_3)
	v_dual_add_f32 v42, v42, v41 :: v_dual_add_f32 v41, v93, v43
	v_fma_f32 v43, 0x3f62ad3f, v73, -v104
	v_add_f32_e32 v25, v46, v25
	v_add_f32_e32 v46, v0, v101
	v_add3_u32 v10, 0, v10, v66
	v_add_f32_e32 v41, v95, v41
	s_delay_alu instid0(VALU_DEP_4) | instskip(SKIP_1) | instid1(VALU_DEP_3)
	v_add_f32_e32 v25, v43, v25
	v_fma_f32 v43, 0x3df6dbef, v74, -v106
	v_dual_add_f32 v46, v103, v46 :: v_dual_add_f32 v41, v97, v41
	s_delay_alu instid0(VALU_DEP_2) | instskip(SKIP_1) | instid1(VALU_DEP_3)
	v_add_f32_e32 v25, v43, v25
	v_fma_f32 v43, 0xbf788fa5, v75, -v108
	v_dual_add_f32 v46, v105, v46 :: v_dual_add_f32 v41, v99, v41
	s_delay_alu instid0(VALU_DEP_2) | instskip(SKIP_1) | instid1(VALU_DEP_3)
	v_add_f32_e32 v25, v43, v25
	v_fma_f32 v43, 0x3f116cb1, v15, -v110
	v_add_f32_e32 v46, v107, v46
	v_fmac_f32_e32 v85, 0x3df6dbef, v70
	s_delay_alu instid0(VALU_DEP_3) | instskip(SKIP_4) | instid1(VALU_DEP_3)
	v_add_f32_e32 v47, v43, v25
	v_add_f32_e32 v43, v59, v58
	v_fma_f32 v58, 0xbeb58ec6, v73, -v116
	v_add_f32_e32 v59, v0, v113
	v_add_f32_e32 v25, v109, v46
	;; [unrolled: 1-line block ×3, first 2 shown]
	v_fma_f32 v58, 0x3f62ad3f, v74, -v118
	s_delay_alu instid0(VALU_DEP_4) | instskip(NEXT) | instid1(VALU_DEP_4)
	v_add_f32_e32 v59, v115, v59
	v_add_f32_e32 v46, v111, v25
	v_fma_f32 v25, 0x3f116cb1, v71, -v83
	s_delay_alu instid0(VALU_DEP_4) | instskip(SKIP_2) | instid1(VALU_DEP_4)
	v_add_f32_e32 v43, v58, v43
	v_fma_f32 v58, 0x3f116cb1, v75, -v120
	v_add_f32_e32 v59, v117, v59
	v_add_f32_e32 v25, v1, v25
	v_dual_add_f32 v1, v1, v18 :: v_dual_sub_f32 v18, v31, v20
	s_delay_alu instid0(VALU_DEP_4)
	v_add_f32_e32 v43, v58, v43
	v_fma_f32 v58, 0xbf3f9e67, v15, -v122
	v_add_f32_e32 v61, v119, v59
	v_add_f32_e32 v25, v60, v25
	v_fma_f32 v60, 0xbf788fa5, v73, -v125
	v_add_f32_e32 v1, v18, v1
	v_add_f32_e32 v59, v58, v43
	;; [unrolled: 1-line block ×6, first 2 shown]
	s_delay_alu instid0(VALU_DEP_4) | instskip(NEXT) | instid1(VALU_DEP_4)
	v_dual_mul_f32 v131, 0xbeb58ec6, v45 :: v_dual_add_f32 v58, v123, v43
	v_add_f32_e32 v28, v80, v61
	v_sub_f32_e32 v18, v34, v78
	s_delay_alu instid0(VALU_DEP_4) | instskip(SKIP_4) | instid1(VALU_DEP_4)
	v_add_f32_e32 v0, v16, v0
	v_add_f32_e32 v16, v19, v33
	;; [unrolled: 1-line block ×3, first 2 shown]
	v_fma_f32 v60, 0xbf3f9e67, v74, -v127
	v_add_f32_e32 v17, v82, v28
	v_dual_add_f32 v1, v18, v1 :: v_dual_add_f32 v0, v16, v0
	s_delay_alu instid0(VALU_DEP_3) | instskip(SKIP_1) | instid1(VALU_DEP_4)
	v_dual_add_f32 v14, v131, v14 :: v_dual_add_f32 v25, v60, v25
	v_fma_f32 v60, 0x3df6dbef, v75, -v128
	v_add_f32_e32 v17, v84, v17
	s_delay_alu instid0(VALU_DEP_4) | instskip(SKIP_1) | instid1(VALU_DEP_4)
	v_add_f32_e32 v1, v11, v1
	v_sub_f32_e32 v11, v12, v76
	v_dual_add_f32 v0, v14, v0 :: v_dual_add_f32 v25, v60, v25
	v_fma_f32 v15, 0x3f62ad3f, v15, -v129
	v_add_f32_e32 v16, v85, v17
	s_delay_alu instid0(VALU_DEP_4) | instskip(NEXT) | instid1(VALU_DEP_4)
	v_dual_add_f32 v11, v11, v1 :: v_dual_sub_f32 v12, v13, v132
	v_add_f32_e32 v13, v9, v0
	s_delay_alu instid0(VALU_DEP_3) | instskip(NEXT) | instid1(VALU_DEP_3)
	v_dual_add_f32 v1, v15, v25 :: v_dual_add_f32 v0, v130, v16
	v_add_f32_e32 v9, v12, v11
	s_delay_alu instid0(VALU_DEP_3)
	v_add_f32_e32 v8, v8, v13
	ds_store_2addr_b64 v10, v[4:5], v[26:27] offset1:1
	ds_store_2addr_b64 v10, v[39:40], v[37:38] offset0:2 offset1:3
	ds_store_2addr_b64 v10, v[35:36], v[23:24] offset0:4 offset1:5
	;; [unrolled: 1-line block ×5, first 2 shown]
	ds_store_b64 v10, v[8:9] offset:96
.LBB0_20:
	s_wait_alu 0xfffe
	s_or_b32 exec_lo, exec_lo, s1
	v_add_nc_u32_e32 v31, 0x400, v51
	global_wb scope:SCOPE_SE
	s_wait_dscnt 0x0
	s_barrier_signal -1
	s_barrier_wait -1
	global_inv scope:SCOPE_SE
	ds_load_2addr_b64 v[6:9], v51 offset0:117 offset1:182
	ds_load_2addr_b64 v[14:17], v67 offset0:43 offset1:108
	;; [unrolled: 1-line block ×5, first 2 shown]
	ds_load_b64 v[0:1], v64
	ds_load_b64 v[28:29], v51 offset:3848
	v_cmp_gt_u32_e64 s0, 26, v50
	s_delay_alu instid0(VALU_DEP_1)
	s_and_saveexec_b32 s1, s0
	s_cbranch_execz .LBB0_22
; %bb.21:
	ds_load_2addr_b64 v[2:5], v31 offset0:28 offset1:210
	ds_load_b64 v[26:27], v51 offset:4160
.LBB0_22:
	s_wait_alu 0xfffe
	s_or_b32 exec_lo, exec_lo, s1
	v_and_b32_e32 v31, 0xff, v50
	v_and_b32_e32 v32, 0xff, v30
	v_add_nc_u16 v34, v50, 0x4e
	v_add_nc_u16 v38, v50, 0x75
	s_delay_alu instid0(VALU_DEP_4) | instskip(NEXT) | instid1(VALU_DEP_4)
	v_mul_lo_u16 v31, 0x4f, v31
	v_mul_lo_u16 v32, 0x4f, v32
	s_delay_alu instid0(VALU_DEP_3) | instskip(NEXT) | instid1(VALU_DEP_3)
	v_and_b32_e32 v33, 0xff, v38
	v_lshrrev_b16 v46, 10, v31
	s_delay_alu instid0(VALU_DEP_3) | instskip(SKIP_1) | instid1(VALU_DEP_4)
	v_lshrrev_b16 v47, 10, v32
	v_and_b32_e32 v32, 0xff, v34
	v_mul_lo_u16 v33, 0x4f, v33
	s_delay_alu instid0(VALU_DEP_4) | instskip(NEXT) | instid1(VALU_DEP_4)
	v_mul_lo_u16 v31, v46, 13
	v_mul_lo_u16 v35, v47, 13
	s_delay_alu instid0(VALU_DEP_4) | instskip(NEXT) | instid1(VALU_DEP_4)
	v_mul_lo_u16 v32, 0x4f, v32
	v_lshrrev_b16 v60, 10, v33
	s_delay_alu instid0(VALU_DEP_4) | instskip(NEXT) | instid1(VALU_DEP_4)
	v_sub_nc_u16 v31, v50, v31
	v_sub_nc_u16 v30, v30, v35
	s_delay_alu instid0(VALU_DEP_4) | instskip(NEXT) | instid1(VALU_DEP_4)
	v_lshrrev_b16 v59, 10, v32
	v_mul_lo_u16 v39, v60, 13
	s_delay_alu instid0(VALU_DEP_4) | instskip(NEXT) | instid1(VALU_DEP_4)
	v_and_b32_e32 v58, 0xff, v31
	v_and_b32_e32 v61, 0xff, v30
	s_delay_alu instid0(VALU_DEP_4) | instskip(NEXT) | instid1(VALU_DEP_4)
	v_mul_lo_u16 v35, v59, 13
	v_sub_nc_u16 v38, v38, v39
	v_and_b32_e32 v59, 0xffff, v59
	v_lshlrev_b32_e32 v30, 4, v58
	v_lshlrev_b32_e32 v36, 4, v61
	v_sub_nc_u16 v40, v34, v35
	v_lshlrev_b32_e32 v58, 3, v58
	v_mad_u32_u24 v59, 0x138, v59, 0
	s_clause 0x1
	global_load_b128 v[30:33], v30, s[8:9]
	global_load_b128 v[34:37], v36, s[8:9]
	v_and_b32_e32 v46, 0xffff, v46
	v_and_b32_e32 v47, 0xffff, v47
	;; [unrolled: 1-line block ×5, first 2 shown]
	v_mad_u32_u24 v46, 0x138, v46, 0
	v_mad_u32_u24 v47, 0x138, v47, 0
	v_lshlrev_b32_e32 v61, 3, v61
	v_lshlrev_b32_e32 v38, 4, v67
	v_mad_u32_u24 v60, 0x138, v60, 0
	v_add3_u32 v46, v46, v58, v66
	v_lshlrev_b32_e32 v58, 3, v67
	v_add3_u32 v47, v47, v61, v66
	v_lshlrev_b32_e32 v61, 3, v68
	s_delay_alu instid0(VALU_DEP_3) | instskip(NEXT) | instid1(VALU_DEP_2)
	v_add3_u32 v58, v59, v58, v66
	v_add3_u32 v59, v60, v61, v66
	s_wait_loadcnt_dscnt 0x106
	v_mul_f32_e32 v60, v31, v9
	v_mul_f32_e32 v31, v31, v8
	s_wait_dscnt 0x5
	v_mul_f32_e32 v61, v33, v17
	v_mul_f32_e32 v33, v33, v16
	s_wait_loadcnt_dscnt 0x3
	v_mul_f32_e32 v67, v35, v19
	v_mul_f32_e32 v35, v35, v18
	v_dual_fmac_f32 v31, v30, v9 :: v_dual_lshlrev_b32 v42, 4, v68
	s_wait_dscnt 0x2
	v_dual_fmac_f32 v33, v32, v17 :: v_dual_mul_f32 v68, v37, v23
	v_mul_f32_e32 v37, v37, v22
	s_clause 0x1
	global_load_b128 v[38:41], v38, s[8:9]
	global_load_b128 v[42:45], v42, s[8:9]
	v_fma_f32 v8, v30, v8, -v60
	v_fma_f32 v9, v32, v16, -v61
	;; [unrolled: 1-line block ×3, first 2 shown]
	v_fmac_f32_e32 v35, v34, v19
	v_fmac_f32_e32 v37, v36, v23
	v_fma_f32 v17, v36, v22, -v68
	global_wb scope:SCOPE_SE
	s_wait_loadcnt_dscnt 0x0
	s_barrier_signal -1
	s_barrier_wait -1
	global_inv scope:SCOPE_SE
	v_mul_f32_e32 v18, v39, v21
	v_mul_f32_e32 v19, v39, v20
	v_dual_mul_f32 v23, v41, v24 :: v_dual_mul_f32 v30, v43, v15
	v_mul_f32_e32 v22, v41, v25
	v_mul_f32_e32 v34, v29, v45
	;; [unrolled: 1-line block ×4, first 2 shown]
	v_fma_f32 v18, v38, v20, -v18
	v_fmac_f32_e32 v19, v38, v21
	s_delay_alu instid0(VALU_DEP_4)
	v_dual_fmac_f32 v23, v40, v25 :: v_dual_fmac_f32 v32, v42, v15
	v_fma_f32 v21, v42, v14, -v30
	v_dual_add_f32 v14, v0, v8 :: v_dual_add_f32 v25, v1, v31
	v_fma_f32 v20, v40, v24, -v22
	v_fma_f32 v22, v28, v44, -v34
	v_add_f32_e32 v28, v31, v33
	v_dual_fmac_f32 v36, v29, v44 :: v_dual_add_f32 v15, v8, v9
	v_dual_add_f32 v30, v10, v16 :: v_dual_sub_f32 v29, v8, v9
	v_add_f32_e32 v38, v11, v35
	v_sub_f32_e32 v34, v35, v37
	v_add_f32_e32 v35, v35, v37
	v_add_f32_e32 v8, v14, v9
	v_dual_add_f32 v9, v25, v33 :: v_dual_sub_f32 v40, v32, v36
	v_dual_add_f32 v25, v12, v18 :: v_dual_sub_f32 v24, v31, v33
	v_fmac_f32_e32 v1, -0.5, v28
	v_dual_add_f32 v31, v16, v17 :: v_dual_add_f32 v28, v18, v20
	v_add_f32_e32 v33, v19, v23
	v_fma_f32 v0, -0.5, v15, v0
	v_dual_add_f32 v14, v30, v17 :: v_dual_add_f32 v41, v7, v32
	v_dual_add_f32 v15, v38, v37 :: v_dual_add_f32 v32, v32, v36
	v_dual_add_f32 v38, v21, v22 :: v_dual_sub_f32 v39, v16, v17
	v_sub_f32_e32 v30, v19, v23
	v_fma_f32 v10, -0.5, v31, v10
	v_fma_f32 v11, -0.5, v35, v11
	v_add_f32_e32 v31, v13, v19
	v_dual_sub_f32 v35, v18, v20 :: v_dual_sub_f32 v42, v21, v22
	v_fma_f32 v12, -0.5, v28, v12
	v_fmac_f32_e32 v13, -0.5, v33
	v_dual_add_f32 v37, v6, v21 :: v_dual_fmamk_f32 v16, v24, 0x3f5db3d7, v0
	v_dual_fmac_f32 v0, 0xbf5db3d7, v24 :: v_dual_fmamk_f32 v17, v29, 0xbf5db3d7, v1
	v_fma_f32 v6, -0.5, v38, v6
	v_fmac_f32_e32 v7, -0.5, v32
	v_dual_fmac_f32 v1, 0x3f5db3d7, v29 :: v_dual_fmamk_f32 v18, v34, 0x3f5db3d7, v10
	v_dual_fmac_f32 v10, 0xbf5db3d7, v34 :: v_dual_fmamk_f32 v19, v39, 0xbf5db3d7, v11
	v_dual_fmac_f32 v11, 0x3f5db3d7, v39 :: v_dual_add_f32 v20, v25, v20
	v_dual_add_f32 v21, v31, v23 :: v_dual_add_f32 v22, v37, v22
	v_fmamk_f32 v24, v30, 0x3f5db3d7, v12
	v_fmamk_f32 v25, v35, 0xbf5db3d7, v13
	v_dual_add_f32 v23, v41, v36 :: v_dual_fmac_f32 v12, 0xbf5db3d7, v30
	v_dual_fmac_f32 v13, 0x3f5db3d7, v35 :: v_dual_fmamk_f32 v28, v40, 0x3f5db3d7, v6
	v_dual_fmac_f32 v6, 0xbf5db3d7, v40 :: v_dual_fmamk_f32 v29, v42, 0xbf5db3d7, v7
	v_fmac_f32_e32 v7, 0x3f5db3d7, v42
	ds_store_2addr_b64 v46, v[8:9], v[16:17] offset1:13
	ds_store_b64 v46, v[0:1] offset:208
	ds_store_2addr_b64 v47, v[14:15], v[18:19] offset1:13
	ds_store_b64 v47, v[10:11] offset:208
	;; [unrolled: 2-line block ×4, first 2 shown]
	s_and_saveexec_b32 s1, s0
	s_cbranch_execz .LBB0_24
; %bb.23:
	v_add_nc_u16 v0, v50, 0x9c
	s_delay_alu instid0(VALU_DEP_1) | instskip(NEXT) | instid1(VALU_DEP_1)
	v_and_b32_e32 v1, 0xff, v0
	v_mul_lo_u16 v1, 0x4f, v1
	s_delay_alu instid0(VALU_DEP_1) | instskip(NEXT) | instid1(VALU_DEP_1)
	v_lshrrev_b16 v1, 10, v1
	v_mul_lo_u16 v6, v1, 13
	s_delay_alu instid0(VALU_DEP_1) | instskip(NEXT) | instid1(VALU_DEP_1)
	v_sub_nc_u16 v0, v0, v6
	v_and_b32_e32 v0, 0xff, v0
	s_delay_alu instid0(VALU_DEP_1)
	v_lshlrev_b32_e32 v6, 4, v0
	global_load_b128 v[6:9], v6, s[8:9]
	s_wait_loadcnt 0x0
	v_mul_f32_e32 v10, v5, v7
	v_mul_f32_e32 v7, v4, v7
	;; [unrolled: 1-line block ×4, first 2 shown]
	s_delay_alu instid0(VALU_DEP_4) | instskip(NEXT) | instid1(VALU_DEP_4)
	v_fma_f32 v4, v4, v6, -v10
	v_fmac_f32_e32 v7, v5, v6
	s_delay_alu instid0(VALU_DEP_4) | instskip(SKIP_2) | instid1(VALU_DEP_3)
	v_fma_f32 v10, v26, v8, -v11
	v_lshlrev_b32_e32 v6, 3, v0
	v_fmac_f32_e32 v9, v27, v8
	v_dual_sub_f32 v8, v4, v10 :: v_dual_and_b32 v1, 0xffff, v1
	v_dual_add_f32 v11, v4, v10 :: v_dual_add_f32 v4, v2, v4
	s_delay_alu instid0(VALU_DEP_3) | instskip(NEXT) | instid1(VALU_DEP_3)
	v_add_f32_e32 v0, v7, v9
	v_mad_u32_u24 v5, 0x138, v1, 0
	s_delay_alu instid0(VALU_DEP_2) | instskip(NEXT) | instid1(VALU_DEP_4)
	v_fma_f32 v1, -0.5, v0, v3
	v_fma_f32 v0, -0.5, v11, v2
	v_add_f32_e32 v2, v4, v10
	v_sub_f32_e32 v12, v7, v9
	v_add_f32_e32 v7, v3, v7
	v_add3_u32 v6, v5, v6, v66
	v_fmamk_f32 v5, v8, 0x3f5db3d7, v1
	s_delay_alu instid0(VALU_DEP_4) | instskip(NEXT) | instid1(VALU_DEP_4)
	v_dual_fmac_f32 v1, 0xbf5db3d7, v8 :: v_dual_fmamk_f32 v4, v12, 0xbf5db3d7, v0
	v_dual_add_f32 v3, v7, v9 :: v_dual_fmac_f32 v0, 0x3f5db3d7, v12
	ds_store_2addr_b64 v6, v[2:3], v[0:1] offset1:13
	ds_store_b64 v6, v[4:5] offset:208
.LBB0_24:
	s_wait_alu 0xfffe
	s_or_b32 exec_lo, exec_lo, s1
	v_mul_u32_u24_e32 v0, 6, v50
	global_wb scope:SCOPE_SE
	s_wait_dscnt 0x0
	s_barrier_signal -1
	s_barrier_wait -1
	global_inv scope:SCOPE_SE
	v_lshlrev_b32_e32 v0, 3, v0
	v_add_co_u32 v41, s0, s8, v54
	s_wait_alu 0xf1ff
	v_add_co_ci_u32_e64 v42, s0, s9, v55, s0
	s_clause 0x2
	global_load_b128 v[1:4], v0, s[8:9] offset:208
	global_load_b128 v[5:8], v0, s[8:9] offset:224
	;; [unrolled: 1-line block ×3, first 2 shown]
	v_add_nc_u32_e32 v0, 0x800, v51
	ds_load_2addr_b64 v[13:16], v51 offset0:39 offset1:78
	ds_load_2addr_b64 v[17:20], v51 offset0:117 offset1:156
	;; [unrolled: 1-line block ×3, first 2 shown]
	ds_load_b64 v[37:38], v64
	ds_load_b64 v[39:40], v51 offset:4056
	v_add_co_u32 v43, s0, s8, v56
	ds_load_2addr_b64 v[25:28], v0 offset0:17 offset1:56
	ds_load_2addr_b64 v[29:32], v0 offset0:95 offset1:134
	;; [unrolled: 1-line block ×3, first 2 shown]
	v_add_nc_u32_e32 v45, 0x400, v51
	s_wait_alu 0xf1ff
	v_add_co_ci_u32_e64 v44, s0, s9, v57, s0
	global_wb scope:SCOPE_SE
	s_wait_loadcnt_dscnt 0x0
	s_barrier_signal -1
	s_barrier_wait -1
	global_inv scope:SCOPE_SE
	v_mul_f32_e32 v46, v2, v16
	v_mul_f32_e32 v47, v2, v15
	v_dual_mul_f32 v55, v4, v19 :: v_dual_mul_f32 v56, v6, v24
	v_dual_mul_f32 v60, v32, v10 :: v_dual_mul_f32 v67, v35, v12
	;; [unrolled: 1-line block ×3, first 2 shown]
	v_mul_f32_e32 v57, v6, v23
	v_dual_mul_f32 v59, v8, v27 :: v_dual_mul_f32 v68, v18, v2
	v_dual_mul_f32 v2, v17, v2 :: v_dual_mul_f32 v69, v22, v4
	s_delay_alu instid0(VALU_DEP_4)
	v_dual_mul_f32 v4, v21, v4 :: v_dual_fmac_f32 v61, v32, v9
	v_dual_mul_f32 v70, v26, v6 :: v_dual_mul_f32 v73, v40, v12
	v_dual_mul_f32 v72, v34, v10 :: v_dual_fmac_f32 v47, v1, v16
	v_dual_mul_f32 v10, v33, v10 :: v_dual_fmac_f32 v55, v3, v20
	v_mul_f32_e32 v66, v36, v12
	v_dual_mul_f32 v12, v39, v12 :: v_dual_fmac_f32 v67, v36, v11
	v_mul_f32_e32 v58, v8, v28
	v_dual_mul_f32 v6, v25, v6 :: v_dual_mul_f32 v71, v30, v8
	v_fma_f32 v15, v1, v15, -v46
	v_fma_f32 v16, v3, v19, -v54
	;; [unrolled: 1-line block ×3, first 2 shown]
	v_dual_fmac_f32 v57, v5, v24 :: v_dual_fmac_f32 v2, v18, v1
	v_fma_f32 v23, v31, v9, -v60
	v_fma_f32 v17, v17, v1, -v68
	;; [unrolled: 1-line block ×3, first 2 shown]
	v_sub_f32_e32 v21, v47, v67
	v_fma_f32 v20, v7, v27, -v58
	v_mul_f32_e32 v8, v29, v8
	v_dual_fmac_f32 v59, v7, v28 :: v_dual_fmac_f32 v4, v22, v3
	v_fma_f32 v3, v25, v5, -v70
	s_delay_alu instid0(VALU_DEP_4)
	v_dual_fmac_f32 v10, v34, v9 :: v_dual_add_f32 v25, v19, v20
	v_add_f32_e32 v22, v16, v23
	v_dual_sub_f32 v16, v16, v23 :: v_dual_sub_f32 v23, v55, v61
	v_fma_f32 v24, v35, v11, -v66
	v_fmac_f32_e32 v6, v26, v5
	v_fma_f32 v5, v29, v7, -v71
	v_sub_f32_e32 v19, v20, v19
	v_fmac_f32_e32 v8, v30, v7
	v_fma_f32 v7, v33, v9, -v72
	v_fma_f32 v9, v39, v11, -v73
	v_dual_fmac_f32 v12, v40, v11 :: v_dual_add_f32 v11, v15, v24
	v_add_f32_e32 v18, v47, v67
	v_sub_f32_e32 v15, v15, v24
	v_add_f32_e32 v24, v55, v61
	v_add_f32_e32 v26, v57, v59
	v_sub_f32_e32 v20, v59, v57
	v_dual_add_f32 v27, v17, v9 :: v_dual_add_f32 v28, v2, v12
	v_sub_f32_e32 v2, v2, v12
	v_add_f32_e32 v12, v1, v7
	v_sub_f32_e32 v1, v1, v7
	v_add_f32_e32 v7, v3, v5
	;; [unrolled: 2-line block ×3, first 2 shown]
	v_dual_sub_f32 v4, v4, v10 :: v_dual_sub_f32 v29, v22, v11
	v_dual_add_f32 v10, v6, v8 :: v_dual_sub_f32 v3, v5, v3
	v_dual_sub_f32 v5, v8, v6 :: v_dual_add_f32 v6, v22, v11
	v_dual_add_f32 v8, v24, v18 :: v_dual_sub_f32 v11, v11, v25
	v_dual_add_f32 v31, v19, v16 :: v_dual_sub_f32 v22, v25, v22
	v_sub_f32_e32 v39, v12, v27
	s_delay_alu instid0(VALU_DEP_4)
	v_dual_add_f32 v32, v20, v23 :: v_dual_add_f32 v47, v5, v4
	v_dual_sub_f32 v33, v19, v16 :: v_dual_sub_f32 v34, v20, v23
	v_sub_f32_e32 v55, v5, v4
	v_dual_sub_f32 v23, v23, v21 :: v_dual_sub_f32 v30, v24, v18
	v_dual_sub_f32 v18, v18, v26 :: v_dual_add_f32 v35, v12, v27
	v_dual_sub_f32 v27, v27, v7 :: v_dual_sub_f32 v24, v26, v24
	v_sub_f32_e32 v57, v1, v9
	v_sub_f32_e32 v19, v15, v19
	;; [unrolled: 1-line block ×3, first 2 shown]
	v_dual_add_f32 v36, v17, v28 :: v_dual_add_f32 v15, v31, v15
	v_sub_f32_e32 v40, v17, v28
	v_sub_f32_e32 v28, v28, v10
	v_dual_sub_f32 v12, v7, v12 :: v_dual_sub_f32 v17, v10, v17
	v_add_f32_e32 v46, v3, v1
	v_dual_sub_f32 v54, v3, v1 :: v_dual_mul_f32 v27, 0x3f4a47b2, v27
	v_sub_f32_e32 v56, v9, v3
	v_dual_sub_f32 v58, v4, v2 :: v_dual_add_f32 v7, v7, v35
	v_dual_add_f32 v6, v25, v6 :: v_dual_mul_f32 v35, 0x3d64c772, v17
	v_mul_f32_e32 v3, 0x3f4a47b2, v11
	v_mul_f32_e32 v11, 0x3d64c772, v22
	;; [unrolled: 1-line block ×3, first 2 shown]
	s_delay_alu instid0(VALU_DEP_4) | instskip(SKIP_2) | instid1(VALU_DEP_4)
	v_dual_mul_f32 v4, 0x3f4a47b2, v18 :: v_dual_add_f32 v1, v6, v37
	v_mul_f32_e32 v18, 0x3d64c772, v24
	v_mul_f32_e32 v31, 0x3f5ff5aa, v16
	v_dual_add_f32 v10, v10, v36 :: v_dual_fmamk_f32 v37, v19, 0x3eae86e6, v25
	v_fma_f32 v11, 0x3f3bfb3b, v29, -v11
	v_fma_f32 v29, 0xbf3bfb3b, v29, -v3
	v_fma_f32 v16, 0x3f5ff5aa, v16, -v25
	v_fma_f32 v25, 0xbf3bfb3b, v39, -v27
	v_dual_fmamk_f32 v22, v22, 0x3d64c772, v3 :: v_dual_add_f32 v3, v7, v13
	v_dual_sub_f32 v20, v21, v20 :: v_dual_sub_f32 v5, v2, v5
	v_dual_add_f32 v8, v26, v8 :: v_dual_add_f32 v33, v47, v2
	s_delay_alu instid0(VALU_DEP_3) | instskip(SKIP_3) | instid1(VALU_DEP_4)
	v_fmamk_f32 v7, v7, 0xbf955555, v3
	v_dual_add_f32 v9, v46, v9 :: v_dual_mul_f32 v36, 0xbf08b237, v54
	v_mul_f32_e32 v46, 0xbf08b237, v55
	v_fmamk_f32 v24, v24, 0x3d64c772, v4
	v_dual_mul_f32 v28, 0x3f4a47b2, v28 :: v_dual_add_f32 v25, v25, v7
	v_mul_f32_e32 v26, 0xbf08b237, v34
	v_mul_f32_e32 v34, 0x3d64c772, v12
	v_fmamk_f32 v12, v12, 0x3d64c772, v27
	v_dual_mul_f32 v54, 0x3f5ff5aa, v58 :: v_dual_add_f32 v21, v32, v21
	v_dual_add_f32 v2, v8, v38 :: v_dual_fmamk_f32 v27, v5, 0x3eae86e6, v46
	v_fma_f32 v19, 0xbeae86e6, v19, -v31
	v_fmamk_f32 v13, v17, 0x3d64c772, v28
	v_fma_f32 v17, 0x3f3bfb3b, v40, -v35
	v_fma_f32 v35, 0xbeae86e6, v5, -v54
	v_dual_fmamk_f32 v5, v6, 0xbf955555, v1 :: v_dual_fmamk_f32 v6, v8, 0xbf955555, v2
	v_dual_mul_f32 v32, 0x3f5ff5aa, v23 :: v_dual_mul_f32 v47, 0x3f5ff5aa, v57
	v_fma_f32 v18, 0x3f3bfb3b, v30, -v18
	v_fma_f32 v30, 0xbf3bfb3b, v30, -v4
	v_dual_add_f32 v4, v10, v14 :: v_dual_fmac_f32 v37, 0x3ee1c552, v15
	v_fmac_f32_e32 v16, 0x3ee1c552, v15
	v_fmac_f32_e32 v19, 0x3ee1c552, v15
	v_add_f32_e32 v15, v22, v5
	v_fma_f32 v23, 0x3f5ff5aa, v23, -v26
	v_fma_f32 v14, 0x3f3bfb3b, v39, -v34
	v_add_f32_e32 v11, v11, v5
	v_fma_f32 v31, 0x3f5ff5aa, v57, -v36
	v_fma_f32 v34, 0xbeae86e6, v56, -v47
	v_fmac_f32_e32 v23, 0x3ee1c552, v21
	v_fmamk_f32 v38, v20, 0x3eae86e6, v26
	v_fma_f32 v20, 0xbeae86e6, v20, -v32
	v_fma_f32 v32, 0x3f5ff5aa, v58, -v46
	v_fmamk_f32 v8, v10, 0xbf955555, v4
	v_dual_fmac_f32 v27, 0x3ee1c552, v33 :: v_dual_add_f32 v18, v18, v6
	s_delay_alu instid0(VALU_DEP_4)
	v_fmac_f32_e32 v20, 0x3ee1c552, v21
	v_fmac_f32_e32 v31, 0x3ee1c552, v9
	;; [unrolled: 1-line block ×4, first 2 shown]
	v_add_f32_e32 v22, v29, v5
	v_dual_fmac_f32 v38, 0x3ee1c552, v21 :: v_dual_add_f32 v33, v14, v7
	v_add_f32_e32 v21, v24, v6
	v_fma_f32 v26, 0xbf3bfb3b, v40, -v28
	v_fmamk_f32 v28, v56, 0x3eae86e6, v36
	v_add_f32_e32 v24, v30, v6
	v_add_f32_e32 v30, v13, v8
	v_sub_f32_e32 v13, v22, v20
	v_add_f32_e32 v26, v26, v8
	v_dual_fmac_f32 v28, 0x3ee1c552, v9 :: v_dual_add_f32 v5, v38, v15
	v_sub_f32_e32 v15, v15, v38
	v_dual_add_f32 v29, v12, v7 :: v_dual_add_f32 v36, v17, v8
	v_sub_f32_e32 v8, v24, v19
	v_add_f32_e32 v14, v19, v24
	v_add_f32_e32 v19, v35, v25
	v_dual_sub_f32 v25, v25, v35 :: v_dual_fmac_f32 v34, 0x3ee1c552, v9
	v_dual_sub_f32 v6, v21, v37 :: v_dual_add_f32 v7, v20, v22
	v_dual_sub_f32 v9, v11, v23 :: v_dual_add_f32 v10, v16, v18
	v_dual_add_f32 v11, v23, v11 :: v_dual_sub_f32 v12, v18, v16
	v_add_f32_e32 v23, v32, v33
	v_add_f32_e32 v16, v37, v21
	v_dual_add_f32 v17, v27, v29 :: v_dual_sub_f32 v18, v30, v28
	v_dual_sub_f32 v21, v33, v32 :: v_dual_sub_f32 v20, v26, v34
	v_dual_add_f32 v26, v34, v26 :: v_dual_sub_f32 v27, v29, v27
	v_add_f32_e32 v28, v28, v30
	v_add_f32_e32 v22, v31, v36
	v_sub_f32_e32 v24, v36, v31
	ds_store_2addr_b64 v51, v[1:2], v[5:6] offset1:39
	ds_store_2addr_b64 v51, v[7:8], v[9:10] offset0:78 offset1:117
	ds_store_2addr_b64 v51, v[11:12], v[13:14] offset0:156 offset1:195
	;; [unrolled: 1-line block ×6, first 2 shown]
	global_wb scope:SCOPE_SE
	s_wait_dscnt 0x0
	s_barrier_signal -1
	s_barrier_wait -1
	global_inv scope:SCOPE_SE
	s_clause 0x6
	global_load_b64 v[25:26], v[41:42], off offset:2080
	global_load_b64 v[27:28], v[43:44], off offset:2392
	;; [unrolled: 1-line block ×7, first 2 shown]
	v_lshl_add_u32 v13, v63, 3, v65
	ds_load_2addr_b64 v[1:4], v0 offset0:17 offset1:56
	ds_load_2addr_b64 v[5:8], v0 offset0:95 offset1:134
	;; [unrolled: 1-line block ×3, first 2 shown]
	v_add_nc_u32_e32 v43, 0x800, v13
	ds_load_b64 v[39:40], v64
	ds_load_b64 v[41:42], v51 offset:4056
	ds_load_2addr_b64 v[13:16], v51 offset0:39 offset1:78
	ds_load_2addr_b64 v[17:20], v51 offset0:117 offset1:156
	;; [unrolled: 1-line block ×3, first 2 shown]
	global_wb scope:SCOPE_SE
	s_wait_loadcnt_dscnt 0x0
	s_barrier_signal -1
	s_barrier_wait -1
	global_inv scope:SCOPE_SE
	v_mul_f32_e32 v0, v26, v2
	v_mul_f32_e32 v26, v26, v1
	;; [unrolled: 1-line block ×5, first 2 shown]
	v_dual_mul_f32 v30, v30, v5 :: v_dual_mul_f32 v47, v32, v8
	v_mul_f32_e32 v32, v32, v7
	v_mul_f32_e32 v54, v34, v10
	v_dual_mul_f32 v34, v34, v9 :: v_dual_mul_f32 v55, v12, v36
	v_mul_f32_e32 v36, v11, v36
	v_mul_f32_e32 v56, v42, v38
	;; [unrolled: 1-line block ×3, first 2 shown]
	v_fma_f32 v0, v25, v1, -v0
	v_fmac_f32_e32 v26, v25, v2
	v_fma_f32 v2, v27, v3, -v44
	v_fmac_f32_e32 v28, v27, v4
	;; [unrolled: 2-line block ×5, first 2 shown]
	v_fma_f32 v10, v11, v35, -v55
	s_delay_alu instid0(VALU_DEP_4)
	v_dual_fmac_f32 v36, v12, v35 :: v_dual_sub_f32 v7, v18, v32
	v_fma_f32 v12, v41, v37, -v56
	v_fmac_f32_e32 v38, v42, v37
	v_dual_sub_f32 v0, v39, v0 :: v_dual_sub_f32 v1, v40, v26
	v_dual_sub_f32 v2, v13, v2 :: v_dual_sub_f32 v3, v14, v28
	;; [unrolled: 1-line block ×3, first 2 shown]
	v_sub_f32_e32 v6, v17, v6
	v_dual_sub_f32 v8, v19, v8 :: v_dual_sub_f32 v9, v20, v34
	v_dual_sub_f32 v10, v21, v10 :: v_dual_sub_f32 v11, v22, v36
	;; [unrolled: 1-line block ×3, first 2 shown]
	v_fma_f32 v27, v39, 2.0, -v0
	v_fma_f32 v28, v40, 2.0, -v1
	;; [unrolled: 1-line block ×14, first 2 shown]
	ds_store_2addr_b64 v43, v[2:3], v[4:5] offset0:56 offset1:95
	ds_store_2addr_b64 v43, v[6:7], v[8:9] offset0:134 offset1:173
	;; [unrolled: 1-line block ×3, first 2 shown]
	ds_store_2addr_b64 v51, v[27:28], v[12:13] offset1:39
	ds_store_2addr_b64 v51, v[14:15], v[16:17] offset0:78 offset1:117
	ds_store_2addr_b64 v51, v[18:19], v[20:21] offset0:156 offset1:195
	;; [unrolled: 1-line block ×3, first 2 shown]
	global_wb scope:SCOPE_SE
	s_wait_dscnt 0x0
	s_barrier_signal -1
	s_barrier_wait -1
	global_inv scope:SCOPE_SE
	s_and_saveexec_b32 s0, vcc_lo
	s_cbranch_execz .LBB0_26
; %bb.25:
	v_mul_lo_u32 v0, s3, v52
	v_mul_lo_u32 v1, s2, v53
	v_mad_co_u64_u32 v[4:5], null, s2, v52, 0
	v_dual_mov_b32 v51, 0 :: v_dual_add_nc_u32 v10, 39, v50
	v_lshl_add_u32 v18, v50, 3, v62
	v_lshlrev_b64_e32 v[8:9], 3, v[48:49]
	s_delay_alu instid0(VALU_DEP_3)
	v_dual_mov_b32 v11, v51 :: v_dual_add_nc_u32 v12, 0x4e, v50
	v_add3_u32 v5, v5, v1, v0
	ds_load_2addr_b64 v[0:3], v18 offset1:39
	v_lshlrev_b64_e32 v[16:17], 3, v[50:51]
	v_mov_b32_e32 v13, v51
	v_lshlrev_b64_e32 v[10:11], 3, v[10:11]
	v_lshlrev_b64_e32 v[14:15], 3, v[4:5]
	ds_load_2addr_b64 v[4:7], v18 offset0:78 offset1:117
	v_dual_mov_b32 v19, v51 :: v_dual_add_nc_u32 v22, 0x800, v18
	v_add_co_u32 v14, vcc_lo, s6, v14
	s_wait_alu 0xfffd
	v_add_co_ci_u32_e32 v15, vcc_lo, s7, v15, vcc_lo
	s_delay_alu instid0(VALU_DEP_2) | instskip(SKIP_1) | instid1(VALU_DEP_2)
	v_add_co_u32 v24, vcc_lo, v14, v8
	s_wait_alu 0xfffd
	v_add_co_ci_u32_e32 v25, vcc_lo, v15, v9, vcc_lo
	v_dual_mov_b32 v15, v51 :: v_dual_add_nc_u32 v14, 0x75, v50
	v_lshlrev_b64_e32 v[8:9], 3, v[12:13]
	v_add_co_u32 v12, vcc_lo, v24, v16
	v_add_nc_u32_e32 v16, 0x9c, v50
	s_wait_alu 0xfffd
	v_add_co_ci_u32_e32 v13, vcc_lo, v25, v17, vcc_lo
	v_add_co_u32 v10, vcc_lo, v24, v10
	v_lshlrev_b64_e32 v[14:15], 3, v[14:15]
	s_wait_alu 0xfffd
	v_add_co_ci_u32_e32 v11, vcc_lo, v25, v11, vcc_lo
	v_add_co_u32 v8, vcc_lo, v24, v8
	s_wait_alu 0xfffd
	v_add_co_ci_u32_e32 v9, vcc_lo, v25, v9, vcc_lo
	v_mov_b32_e32 v17, v51
	v_add_co_u32 v14, vcc_lo, v24, v14
	s_wait_alu 0xfffd
	v_add_co_ci_u32_e32 v15, vcc_lo, v25, v15, vcc_lo
	s_wait_dscnt 0x1
	s_clause 0x1
	global_store_b64 v[12:13], v[0:1], off
	global_store_b64 v[10:11], v[2:3], off
	s_wait_dscnt 0x0
	s_clause 0x1
	global_store_b64 v[8:9], v[4:5], off
	global_store_b64 v[14:15], v[6:7], off
	v_add_nc_u32_e32 v6, 0xc3, v50
	v_lshlrev_b64_e32 v[4:5], 3, v[16:17]
	v_dual_mov_b32 v7, v51 :: v_dual_add_nc_u32 v8, 0xea, v50
	v_dual_mov_b32 v9, v51 :: v_dual_add_nc_u32 v14, 0x400, v18
	ds_load_2addr_b64 v[0:3], v18 offset0:156 offset1:195
	v_add_co_u32 v10, vcc_lo, v24, v4
	s_wait_alu 0xfffd
	v_add_co_ci_u32_e32 v11, vcc_lo, v25, v5, vcc_lo
	v_lshlrev_b64_e32 v[12:13], 3, v[6:7]
	ds_load_2addr_b64 v[4:7], v14 offset0:106 offset1:145
	v_dual_mov_b32 v15, v51 :: v_dual_add_nc_u32 v14, 0x111, v50
	v_lshlrev_b64_e32 v[8:9], 3, v[8:9]
	v_add_nc_u32_e32 v16, 0x138, v50
	v_add_co_u32 v12, vcc_lo, v24, v12
	s_delay_alu instid0(VALU_DEP_4)
	v_lshlrev_b64_e32 v[14:15], 3, v[14:15]
	s_wait_alu 0xfffd
	v_add_co_ci_u32_e32 v13, vcc_lo, v25, v13, vcc_lo
	v_add_co_u32 v8, vcc_lo, v24, v8
	s_wait_alu 0xfffd
	v_add_co_ci_u32_e32 v9, vcc_lo, v25, v9, vcc_lo
	v_add_co_u32 v14, vcc_lo, v24, v14
	s_wait_alu 0xfffd
	v_add_co_ci_u32_e32 v15, vcc_lo, v25, v15, vcc_lo
	s_wait_dscnt 0x1
	s_clause 0x1
	global_store_b64 v[10:11], v[0:1], off
	global_store_b64 v[12:13], v[2:3], off
	s_wait_dscnt 0x0
	s_clause 0x1
	global_store_b64 v[8:9], v[4:5], off
	global_store_b64 v[14:15], v[6:7], off
	v_dual_mov_b32 v5, v51 :: v_dual_add_nc_u32 v4, 0x15f, v50
	v_mov_b32_e32 v9, v51
	v_lshlrev_b64_e32 v[16:17], 3, v[16:17]
	v_dual_mov_b32 v7, v51 :: v_dual_add_nc_u32 v6, 0x186, v50
	s_delay_alu instid0(VALU_DEP_4)
	v_lshlrev_b64_e32 v[4:5], 3, v[4:5]
	v_add_nc_u32_e32 v8, 0x1ad, v50
	ds_load_2addr_b64 v[0:3], v22 offset0:56 offset1:95
	v_add_co_u32 v12, vcc_lo, v24, v16
	v_lshlrev_b64_e32 v[10:11], 3, v[6:7]
	s_wait_alu 0xfffd
	v_add_co_ci_u32_e32 v13, vcc_lo, v25, v17, vcc_lo
	v_add_co_u32 v14, vcc_lo, v24, v4
	s_wait_alu 0xfffd
	v_add_co_ci_u32_e32 v15, vcc_lo, v25, v5, vcc_lo
	ds_load_2addr_b64 v[4:7], v22 offset0:134 offset1:173
	v_add_co_u32 v20, vcc_lo, v24, v10
	v_lshlrev_b64_e32 v[16:17], 3, v[8:9]
	v_add_nc_u32_e32 v18, 0x1d4, v50
	s_wait_alu 0xfffd
	v_add_co_ci_u32_e32 v21, vcc_lo, v25, v11, vcc_lo
	ds_load_2addr_b64 v[8:11], v22 offset0:212 offset1:251
	v_add_nc_u32_e32 v50, 0x1fb, v50
	v_lshlrev_b64_e32 v[18:19], 3, v[18:19]
	v_add_co_u32 v16, vcc_lo, v24, v16
	s_wait_alu 0xfffd
	v_add_co_ci_u32_e32 v17, vcc_lo, v25, v17, vcc_lo
	v_lshlrev_b64_e32 v[22:23], 3, v[50:51]
	s_delay_alu instid0(VALU_DEP_4) | instskip(SKIP_2) | instid1(VALU_DEP_3)
	v_add_co_u32 v18, vcc_lo, v24, v18
	s_wait_alu 0xfffd
	v_add_co_ci_u32_e32 v19, vcc_lo, v25, v19, vcc_lo
	v_add_co_u32 v22, vcc_lo, v24, v22
	s_wait_alu 0xfffd
	v_add_co_ci_u32_e32 v23, vcc_lo, v25, v23, vcc_lo
	s_wait_dscnt 0x2
	s_clause 0x1
	global_store_b64 v[12:13], v[0:1], off
	global_store_b64 v[14:15], v[2:3], off
	s_wait_dscnt 0x1
	s_clause 0x1
	global_store_b64 v[20:21], v[4:5], off
	global_store_b64 v[16:17], v[6:7], off
	s_wait_dscnt 0x0
	s_clause 0x1
	global_store_b64 v[18:19], v[8:9], off
	global_store_b64 v[22:23], v[10:11], off
.LBB0_26:
	s_nop 0
	s_sendmsg sendmsg(MSG_DEALLOC_VGPRS)
	s_endpgm
	.section	.rodata,"a",@progbits
	.p2align	6, 0x0
	.amdhsa_kernel fft_rtc_fwd_len546_factors_13_3_7_2_wgs_117_tpt_39_halfLds_sp_op_CI_CI_unitstride_sbrr_C2R_dirReg
		.amdhsa_group_segment_fixed_size 0
		.amdhsa_private_segment_fixed_size 0
		.amdhsa_kernarg_size 104
		.amdhsa_user_sgpr_count 2
		.amdhsa_user_sgpr_dispatch_ptr 0
		.amdhsa_user_sgpr_queue_ptr 0
		.amdhsa_user_sgpr_kernarg_segment_ptr 1
		.amdhsa_user_sgpr_dispatch_id 0
		.amdhsa_user_sgpr_private_segment_size 0
		.amdhsa_wavefront_size32 1
		.amdhsa_uses_dynamic_stack 0
		.amdhsa_enable_private_segment 0
		.amdhsa_system_sgpr_workgroup_id_x 1
		.amdhsa_system_sgpr_workgroup_id_y 0
		.amdhsa_system_sgpr_workgroup_id_z 0
		.amdhsa_system_sgpr_workgroup_info 0
		.amdhsa_system_vgpr_workitem_id 0
		.amdhsa_next_free_vgpr 213
		.amdhsa_next_free_sgpr 39
		.amdhsa_reserve_vcc 1
		.amdhsa_float_round_mode_32 0
		.amdhsa_float_round_mode_16_64 0
		.amdhsa_float_denorm_mode_32 3
		.amdhsa_float_denorm_mode_16_64 3
		.amdhsa_fp16_overflow 0
		.amdhsa_workgroup_processor_mode 1
		.amdhsa_memory_ordered 1
		.amdhsa_forward_progress 0
		.amdhsa_round_robin_scheduling 0
		.amdhsa_exception_fp_ieee_invalid_op 0
		.amdhsa_exception_fp_denorm_src 0
		.amdhsa_exception_fp_ieee_div_zero 0
		.amdhsa_exception_fp_ieee_overflow 0
		.amdhsa_exception_fp_ieee_underflow 0
		.amdhsa_exception_fp_ieee_inexact 0
		.amdhsa_exception_int_div_zero 0
	.end_amdhsa_kernel
	.text
.Lfunc_end0:
	.size	fft_rtc_fwd_len546_factors_13_3_7_2_wgs_117_tpt_39_halfLds_sp_op_CI_CI_unitstride_sbrr_C2R_dirReg, .Lfunc_end0-fft_rtc_fwd_len546_factors_13_3_7_2_wgs_117_tpt_39_halfLds_sp_op_CI_CI_unitstride_sbrr_C2R_dirReg
                                        ; -- End function
	.section	.AMDGPU.csdata,"",@progbits
; Kernel info:
; codeLenInByte = 13668
; NumSgprs: 41
; NumVgprs: 213
; ScratchSize: 0
; MemoryBound: 0
; FloatMode: 240
; IeeeMode: 1
; LDSByteSize: 0 bytes/workgroup (compile time only)
; SGPRBlocks: 5
; VGPRBlocks: 26
; NumSGPRsForWavesPerEU: 41
; NumVGPRsForWavesPerEU: 213
; Occupancy: 7
; WaveLimiterHint : 1
; COMPUTE_PGM_RSRC2:SCRATCH_EN: 0
; COMPUTE_PGM_RSRC2:USER_SGPR: 2
; COMPUTE_PGM_RSRC2:TRAP_HANDLER: 0
; COMPUTE_PGM_RSRC2:TGID_X_EN: 1
; COMPUTE_PGM_RSRC2:TGID_Y_EN: 0
; COMPUTE_PGM_RSRC2:TGID_Z_EN: 0
; COMPUTE_PGM_RSRC2:TIDIG_COMP_CNT: 0
	.text
	.p2alignl 7, 3214868480
	.fill 96, 4, 3214868480
	.type	__hip_cuid_dd538c9c17d9f8c6,@object ; @__hip_cuid_dd538c9c17d9f8c6
	.section	.bss,"aw",@nobits
	.globl	__hip_cuid_dd538c9c17d9f8c6
__hip_cuid_dd538c9c17d9f8c6:
	.byte	0                               ; 0x0
	.size	__hip_cuid_dd538c9c17d9f8c6, 1

	.ident	"AMD clang version 19.0.0git (https://github.com/RadeonOpenCompute/llvm-project roc-6.4.0 25133 c7fe45cf4b819c5991fe208aaa96edf142730f1d)"
	.section	".note.GNU-stack","",@progbits
	.addrsig
	.addrsig_sym __hip_cuid_dd538c9c17d9f8c6
	.amdgpu_metadata
---
amdhsa.kernels:
  - .args:
      - .actual_access:  read_only
        .address_space:  global
        .offset:         0
        .size:           8
        .value_kind:     global_buffer
      - .offset:         8
        .size:           8
        .value_kind:     by_value
      - .actual_access:  read_only
        .address_space:  global
        .offset:         16
        .size:           8
        .value_kind:     global_buffer
      - .actual_access:  read_only
        .address_space:  global
        .offset:         24
        .size:           8
        .value_kind:     global_buffer
      - .actual_access:  read_only
        .address_space:  global
        .offset:         32
        .size:           8
        .value_kind:     global_buffer
      - .offset:         40
        .size:           8
        .value_kind:     by_value
      - .actual_access:  read_only
        .address_space:  global
        .offset:         48
        .size:           8
        .value_kind:     global_buffer
      - .actual_access:  read_only
        .address_space:  global
        .offset:         56
        .size:           8
        .value_kind:     global_buffer
      - .offset:         64
        .size:           4
        .value_kind:     by_value
      - .actual_access:  read_only
        .address_space:  global
        .offset:         72
        .size:           8
        .value_kind:     global_buffer
      - .actual_access:  read_only
        .address_space:  global
        .offset:         80
        .size:           8
        .value_kind:     global_buffer
      - .actual_access:  read_only
        .address_space:  global
        .offset:         88
        .size:           8
        .value_kind:     global_buffer
      - .actual_access:  write_only
        .address_space:  global
        .offset:         96
        .size:           8
        .value_kind:     global_buffer
    .group_segment_fixed_size: 0
    .kernarg_segment_align: 8
    .kernarg_segment_size: 104
    .language:       OpenCL C
    .language_version:
      - 2
      - 0
    .max_flat_workgroup_size: 117
    .name:           fft_rtc_fwd_len546_factors_13_3_7_2_wgs_117_tpt_39_halfLds_sp_op_CI_CI_unitstride_sbrr_C2R_dirReg
    .private_segment_fixed_size: 0
    .sgpr_count:     41
    .sgpr_spill_count: 0
    .symbol:         fft_rtc_fwd_len546_factors_13_3_7_2_wgs_117_tpt_39_halfLds_sp_op_CI_CI_unitstride_sbrr_C2R_dirReg.kd
    .uniform_work_group_size: 1
    .uses_dynamic_stack: false
    .vgpr_count:     213
    .vgpr_spill_count: 0
    .wavefront_size: 32
    .workgroup_processor_mode: 1
amdhsa.target:   amdgcn-amd-amdhsa--gfx1201
amdhsa.version:
  - 1
  - 2
...

	.end_amdgpu_metadata
